;; amdgpu-corpus repo=ROCm/rocFFT kind=compiled arch=gfx906 opt=O3
	.text
	.amdgcn_target "amdgcn-amd-amdhsa--gfx906"
	.amdhsa_code_object_version 6
	.protected	fft_rtc_back_len3000_factors_10_3_10_10_wgs_100_tpt_100_halfLds_dp_op_CI_CI_unitstride_sbrr_C2R_dirReg ; -- Begin function fft_rtc_back_len3000_factors_10_3_10_10_wgs_100_tpt_100_halfLds_dp_op_CI_CI_unitstride_sbrr_C2R_dirReg
	.globl	fft_rtc_back_len3000_factors_10_3_10_10_wgs_100_tpt_100_halfLds_dp_op_CI_CI_unitstride_sbrr_C2R_dirReg
	.p2align	8
	.type	fft_rtc_back_len3000_factors_10_3_10_10_wgs_100_tpt_100_halfLds_dp_op_CI_CI_unitstride_sbrr_C2R_dirReg,@function
fft_rtc_back_len3000_factors_10_3_10_10_wgs_100_tpt_100_halfLds_dp_op_CI_CI_unitstride_sbrr_C2R_dirReg: ; @fft_rtc_back_len3000_factors_10_3_10_10_wgs_100_tpt_100_halfLds_dp_op_CI_CI_unitstride_sbrr_C2R_dirReg
; %bb.0:
	s_load_dwordx4 s[8:11], s[4:5], 0x58
	s_load_dwordx4 s[12:15], s[4:5], 0x0
	;; [unrolled: 1-line block ×3, first 2 shown]
	v_mul_u32_u24_e32 v1, 0x290, v0
	v_add_u32_sdwa v5, s6, v1 dst_sel:DWORD dst_unused:UNUSED_PAD src0_sel:DWORD src1_sel:WORD_1
	v_mov_b32_e32 v3, 0
	s_waitcnt lgkmcnt(0)
	v_cmp_lt_u64_e64 s[0:1], s[14:15], 2
	v_mov_b32_e32 v1, 0
	v_mov_b32_e32 v6, v3
	s_and_b64 vcc, exec, s[0:1]
	v_mov_b32_e32 v2, 0
	s_cbranch_vccnz .LBB0_8
; %bb.1:
	s_load_dwordx2 s[0:1], s[4:5], 0x10
	s_add_u32 s2, s18, 8
	s_addc_u32 s3, s19, 0
	s_add_u32 s6, s16, 8
	v_mov_b32_e32 v1, 0
	s_addc_u32 s7, s17, 0
	v_mov_b32_e32 v2, 0
	s_waitcnt lgkmcnt(0)
	s_add_u32 s20, s0, 8
	v_mov_b32_e32 v75, v2
	s_addc_u32 s21, s1, 0
	s_mov_b64 s[22:23], 1
	v_mov_b32_e32 v74, v1
.LBB0_2:                                ; =>This Inner Loop Header: Depth=1
	s_load_dwordx2 s[24:25], s[20:21], 0x0
                                        ; implicit-def: $vgpr76_vgpr77
	s_waitcnt lgkmcnt(0)
	v_or_b32_e32 v4, s25, v6
	v_cmp_ne_u64_e32 vcc, 0, v[3:4]
	s_and_saveexec_b64 s[0:1], vcc
	s_xor_b64 s[26:27], exec, s[0:1]
	s_cbranch_execz .LBB0_4
; %bb.3:                                ;   in Loop: Header=BB0_2 Depth=1
	v_cvt_f32_u32_e32 v4, s24
	v_cvt_f32_u32_e32 v7, s25
	s_sub_u32 s0, 0, s24
	s_subb_u32 s1, 0, s25
	v_mac_f32_e32 v4, 0x4f800000, v7
	v_rcp_f32_e32 v4, v4
	v_mul_f32_e32 v4, 0x5f7ffffc, v4
	v_mul_f32_e32 v7, 0x2f800000, v4
	v_trunc_f32_e32 v7, v7
	v_mac_f32_e32 v4, 0xcf800000, v7
	v_cvt_u32_f32_e32 v7, v7
	v_cvt_u32_f32_e32 v4, v4
	v_mul_lo_u32 v8, s0, v7
	v_mul_hi_u32 v9, s0, v4
	v_mul_lo_u32 v11, s1, v4
	v_mul_lo_u32 v10, s0, v4
	v_add_u32_e32 v8, v9, v8
	v_add_u32_e32 v8, v8, v11
	v_mul_hi_u32 v9, v4, v10
	v_mul_lo_u32 v11, v4, v8
	v_mul_hi_u32 v13, v4, v8
	v_mul_hi_u32 v12, v7, v10
	v_mul_lo_u32 v10, v7, v10
	v_mul_hi_u32 v14, v7, v8
	v_add_co_u32_e32 v9, vcc, v9, v11
	v_addc_co_u32_e32 v11, vcc, 0, v13, vcc
	v_mul_lo_u32 v8, v7, v8
	v_add_co_u32_e32 v9, vcc, v9, v10
	v_addc_co_u32_e32 v9, vcc, v11, v12, vcc
	v_addc_co_u32_e32 v10, vcc, 0, v14, vcc
	v_add_co_u32_e32 v8, vcc, v9, v8
	v_addc_co_u32_e32 v9, vcc, 0, v10, vcc
	v_add_co_u32_e32 v4, vcc, v4, v8
	v_addc_co_u32_e32 v7, vcc, v7, v9, vcc
	v_mul_lo_u32 v8, s0, v7
	v_mul_hi_u32 v9, s0, v4
	v_mul_lo_u32 v10, s1, v4
	v_mul_lo_u32 v11, s0, v4
	v_add_u32_e32 v8, v9, v8
	v_add_u32_e32 v8, v8, v10
	v_mul_lo_u32 v12, v4, v8
	v_mul_hi_u32 v13, v4, v11
	v_mul_hi_u32 v14, v4, v8
	v_mul_hi_u32 v10, v7, v11
	v_mul_lo_u32 v11, v7, v11
	v_mul_hi_u32 v9, v7, v8
	v_add_co_u32_e32 v12, vcc, v13, v12
	v_addc_co_u32_e32 v13, vcc, 0, v14, vcc
	v_mul_lo_u32 v8, v7, v8
	v_add_co_u32_e32 v11, vcc, v12, v11
	v_addc_co_u32_e32 v10, vcc, v13, v10, vcc
	v_addc_co_u32_e32 v9, vcc, 0, v9, vcc
	v_add_co_u32_e32 v8, vcc, v10, v8
	v_addc_co_u32_e32 v9, vcc, 0, v9, vcc
	v_add_co_u32_e32 v4, vcc, v4, v8
	v_addc_co_u32_e32 v9, vcc, v7, v9, vcc
	v_mad_u64_u32 v[7:8], s[0:1], v5, v9, 0
	v_mul_hi_u32 v10, v5, v4
	v_add_co_u32_e32 v11, vcc, v10, v7
	v_addc_co_u32_e32 v12, vcc, 0, v8, vcc
	v_mad_u64_u32 v[7:8], s[0:1], v6, v4, 0
	v_mad_u64_u32 v[9:10], s[0:1], v6, v9, 0
	v_add_co_u32_e32 v4, vcc, v11, v7
	v_addc_co_u32_e32 v4, vcc, v12, v8, vcc
	v_addc_co_u32_e32 v7, vcc, 0, v10, vcc
	v_add_co_u32_e32 v4, vcc, v4, v9
	v_addc_co_u32_e32 v9, vcc, 0, v7, vcc
	v_mul_lo_u32 v10, s25, v4
	v_mul_lo_u32 v11, s24, v9
	v_mad_u64_u32 v[7:8], s[0:1], s24, v4, 0
	v_add3_u32 v8, v8, v11, v10
	v_sub_u32_e32 v10, v6, v8
	v_mov_b32_e32 v11, s25
	v_sub_co_u32_e32 v7, vcc, v5, v7
	v_subb_co_u32_e64 v10, s[0:1], v10, v11, vcc
	v_subrev_co_u32_e64 v11, s[0:1], s24, v7
	v_subbrev_co_u32_e64 v10, s[0:1], 0, v10, s[0:1]
	v_cmp_le_u32_e64 s[0:1], s25, v10
	v_cndmask_b32_e64 v12, 0, -1, s[0:1]
	v_cmp_le_u32_e64 s[0:1], s24, v11
	v_cndmask_b32_e64 v11, 0, -1, s[0:1]
	v_cmp_eq_u32_e64 s[0:1], s25, v10
	v_cndmask_b32_e64 v10, v12, v11, s[0:1]
	v_add_co_u32_e64 v11, s[0:1], 2, v4
	v_addc_co_u32_e64 v12, s[0:1], 0, v9, s[0:1]
	v_add_co_u32_e64 v13, s[0:1], 1, v4
	v_addc_co_u32_e64 v14, s[0:1], 0, v9, s[0:1]
	v_subb_co_u32_e32 v8, vcc, v6, v8, vcc
	v_cmp_ne_u32_e64 s[0:1], 0, v10
	v_cmp_le_u32_e32 vcc, s25, v8
	v_cndmask_b32_e64 v10, v14, v12, s[0:1]
	v_cndmask_b32_e64 v12, 0, -1, vcc
	v_cmp_le_u32_e32 vcc, s24, v7
	v_cndmask_b32_e64 v7, 0, -1, vcc
	v_cmp_eq_u32_e32 vcc, s25, v8
	v_cndmask_b32_e32 v7, v12, v7, vcc
	v_cmp_ne_u32_e32 vcc, 0, v7
	v_cndmask_b32_e64 v7, v13, v11, s[0:1]
	v_cndmask_b32_e32 v77, v9, v10, vcc
	v_cndmask_b32_e32 v76, v4, v7, vcc
.LBB0_4:                                ;   in Loop: Header=BB0_2 Depth=1
	s_andn2_saveexec_b64 s[0:1], s[26:27]
	s_cbranch_execz .LBB0_6
; %bb.5:                                ;   in Loop: Header=BB0_2 Depth=1
	v_cvt_f32_u32_e32 v4, s24
	s_sub_i32 s26, 0, s24
	v_mov_b32_e32 v77, v3
	v_rcp_iflag_f32_e32 v4, v4
	v_mul_f32_e32 v4, 0x4f7ffffe, v4
	v_cvt_u32_f32_e32 v4, v4
	v_mul_lo_u32 v7, s26, v4
	v_mul_hi_u32 v7, v4, v7
	v_add_u32_e32 v4, v4, v7
	v_mul_hi_u32 v4, v5, v4
	v_mul_lo_u32 v7, v4, s24
	v_add_u32_e32 v8, 1, v4
	v_sub_u32_e32 v7, v5, v7
	v_subrev_u32_e32 v9, s24, v7
	v_cmp_le_u32_e32 vcc, s24, v7
	v_cndmask_b32_e32 v7, v7, v9, vcc
	v_cndmask_b32_e32 v4, v4, v8, vcc
	v_add_u32_e32 v8, 1, v4
	v_cmp_le_u32_e32 vcc, s24, v7
	v_cndmask_b32_e32 v76, v4, v8, vcc
.LBB0_6:                                ;   in Loop: Header=BB0_2 Depth=1
	s_or_b64 exec, exec, s[0:1]
	v_mul_lo_u32 v4, v77, s24
	v_mul_lo_u32 v9, v76, s25
	v_mad_u64_u32 v[7:8], s[0:1], v76, s24, 0
	s_load_dwordx2 s[0:1], s[6:7], 0x0
	s_load_dwordx2 s[24:25], s[2:3], 0x0
	v_add3_u32 v4, v8, v9, v4
	v_sub_co_u32_e32 v5, vcc, v5, v7
	v_subb_co_u32_e32 v4, vcc, v6, v4, vcc
	s_waitcnt lgkmcnt(0)
	v_mul_lo_u32 v6, s0, v4
	v_mul_lo_u32 v7, s1, v5
	v_mad_u64_u32 v[1:2], s[0:1], s0, v5, v[1:2]
	v_mul_lo_u32 v4, s24, v4
	v_mul_lo_u32 v8, s25, v5
	v_mad_u64_u32 v[74:75], s[0:1], s24, v5, v[74:75]
	s_add_u32 s22, s22, 1
	s_addc_u32 s23, s23, 0
	s_add_u32 s2, s2, 8
	v_add3_u32 v75, v8, v75, v4
	s_addc_u32 s3, s3, 0
	v_mov_b32_e32 v4, s14
	s_add_u32 s6, s6, 8
	v_mov_b32_e32 v5, s15
	s_addc_u32 s7, s7, 0
	v_cmp_ge_u64_e32 vcc, s[22:23], v[4:5]
	s_add_u32 s20, s20, 8
	v_add3_u32 v2, v7, v2, v6
	s_addc_u32 s21, s21, 0
	s_cbranch_vccnz .LBB0_9
; %bb.7:                                ;   in Loop: Header=BB0_2 Depth=1
	v_mov_b32_e32 v5, v76
	v_mov_b32_e32 v6, v77
	s_branch .LBB0_2
.LBB0_8:
	v_mov_b32_e32 v75, v2
	v_mov_b32_e32 v77, v6
	;; [unrolled: 1-line block ×4, first 2 shown]
.LBB0_9:
	s_load_dwordx2 s[4:5], s[4:5], 0x28
	s_lshl_b64 s[6:7], s[14:15], 3
	s_add_u32 s2, s18, s6
	s_addc_u32 s3, s19, s7
                                        ; implicit-def: $vgpr72
	s_waitcnt lgkmcnt(0)
	v_cmp_gt_u64_e64 s[0:1], s[4:5], v[76:77]
	v_cmp_le_u64_e32 vcc, s[4:5], v[76:77]
	s_and_saveexec_b64 s[4:5], vcc
	s_xor_b64 s[4:5], exec, s[4:5]
; %bb.10:
	s_mov_b32 s14, 0x28f5c29
	v_mul_hi_u32 v1, v0, s14
	v_mul_u32_u24_e32 v1, 0x64, v1
	v_sub_u32_e32 v72, v0, v1
                                        ; implicit-def: $vgpr0
                                        ; implicit-def: $vgpr1_vgpr2
; %bb.11:
	s_or_saveexec_b64 s[4:5], s[4:5]
	s_load_dwordx2 s[2:3], s[2:3], 0x0
	s_xor_b64 exec, exec, s[4:5]
	s_cbranch_execz .LBB0_15
; %bb.12:
	s_add_u32 s6, s16, s6
	s_addc_u32 s7, s17, s7
	s_load_dwordx2 s[6:7], s[6:7], 0x0
	s_mov_b32 s14, 0x28f5c29
	v_mul_hi_u32 v5, v0, s14
	v_lshlrev_b64 v[1:2], 4, v[1:2]
	s_waitcnt lgkmcnt(0)
	v_mul_lo_u32 v6, s7, v76
	v_mul_lo_u32 v7, s6, v77
	v_mad_u64_u32 v[3:4], s[6:7], s6, v76, 0
	v_mul_u32_u24_e32 v5, 0x64, v5
	v_sub_u32_e32 v72, v0, v5
	v_add3_u32 v4, v4, v7, v6
	v_lshlrev_b64 v[3:4], 4, v[3:4]
	v_mov_b32_e32 v0, s9
	v_add_co_u32_e32 v3, vcc, s8, v3
	v_addc_co_u32_e32 v0, vcc, v0, v4, vcc
	v_add_co_u32_e32 v1, vcc, v3, v1
	v_addc_co_u32_e32 v0, vcc, v0, v2, vcc
	v_lshlrev_b32_e32 v73, 4, v72
	v_add_co_u32_e32 v70, vcc, v1, v73
	v_addc_co_u32_e32 v71, vcc, 0, v0, vcc
	s_movk_i32 s6, 0x1000
	v_add_co_u32_e32 v34, vcc, s6, v70
	v_addc_co_u32_e32 v35, vcc, 0, v71, vcc
	s_movk_i32 s6, 0x2000
	;; [unrolled: 3-line block ×7, first 2 shown]
	v_add_co_u32_e32 v106, vcc, s6, v70
	v_addc_co_u32_e32 v107, vcc, 0, v71, vcc
	s_mov_b32 s6, 0x8000
	v_add_co_u32_e32 v108, vcc, s6, v70
	v_addc_co_u32_e32 v109, vcc, 0, v71, vcc
	s_mov_b32 s6, 0x9000
	v_add_co_u32_e32 v114, vcc, s6, v70
	v_addc_co_u32_e32 v115, vcc, 0, v71, vcc
	s_mov_b32 s6, 0xa000
	v_add_co_u32_e32 v122, vcc, s6, v70
	v_addc_co_u32_e32 v123, vcc, 0, v71, vcc
	global_load_dwordx4 v[2:5], v[70:71], off
	global_load_dwordx4 v[6:9], v[70:71], off offset:1600
	global_load_dwordx4 v[10:13], v[70:71], off offset:3200
	;; [unrolled: 1-line block ×3, first 2 shown]
	v_add_co_u32_e32 v70, vcc, 0xb000, v70
	global_load_dwordx4 v[18:21], v[34:35], off offset:2304
	global_load_dwordx4 v[22:25], v[34:35], off offset:3904
	global_load_dwordx4 v[26:29], v[36:37], off offset:1408
	global_load_dwordx4 v[30:33], v[36:37], off offset:3008
	s_nop 0
	global_load_dwordx4 v[34:37], v[50:51], off offset:512
	global_load_dwordx4 v[38:41], v[50:51], off offset:2112
	global_load_dwordx4 v[42:45], v[50:51], off offset:3712
	global_load_dwordx4 v[46:49], v[66:67], off offset:1216
	s_nop 0
	;; [unrolled: 5-line block ×5, first 2 shown]
	global_load_dwordx4 v[106:109], v[114:115], off offset:1536
	global_load_dwordx4 v[110:113], v[114:115], off offset:3136
	s_nop 0
	global_load_dwordx4 v[114:117], v[122:123], off offset:640
	global_load_dwordx4 v[118:121], v[122:123], off offset:2240
	v_addc_co_u32_e32 v71, vcc, 0, v71, vcc
	global_load_dwordx4 v[122:125], v[122:123], off offset:3840
	s_nop 0
	global_load_dwordx4 v[126:129], v[70:71], off offset:1344
	s_movk_i32 s6, 0x63
	v_add_u32_e32 v70, 0, v73
	v_cmp_eq_u32_e32 vcc, s6, v72
	s_waitcnt vmcnt(29)
	ds_write_b128 v70, v[2:5]
	s_waitcnt vmcnt(28)
	ds_write_b128 v70, v[6:9] offset:1600
	s_waitcnt vmcnt(27)
	ds_write_b128 v70, v[10:13] offset:3200
	;; [unrolled: 2-line block ×29, first 2 shown]
	s_and_saveexec_b64 s[6:7], vcc
	s_cbranch_execz .LBB0_14
; %bb.13:
	v_add_co_u32_e32 v1, vcc, 0xb000, v1
	v_addc_co_u32_e32 v2, vcc, 0, v0, vcc
	global_load_dwordx4 v[0:3], v[1:2], off offset:2944
	v_mov_b32_e32 v4, 0
	v_mov_b32_e32 v72, 0x63
	s_waitcnt vmcnt(0)
	ds_write_b128 v4, v[0:3] offset:48000
.LBB0_14:
	s_or_b64 exec, exec, s[6:7]
.LBB0_15:
	s_or_b64 exec, exec, s[4:5]
	v_lshlrev_b32_e32 v0, 4, v72
	v_add_u32_e32 v124, 0, v0
	s_waitcnt lgkmcnt(0)
	s_barrier
	v_sub_u32_e32 v12, 0, v0
	ds_read_b64 v[6:7], v124
	ds_read_b64 v[8:9], v12 offset:48000
	s_add_u32 s6, s12, 0xbae0
	s_addc_u32 s7, s13, 0
	v_cmp_ne_u32_e32 vcc, 0, v72
                                        ; implicit-def: $vgpr4_vgpr5
	s_waitcnt lgkmcnt(0)
	v_add_f64 v[0:1], v[6:7], v[8:9]
	v_add_f64 v[2:3], v[6:7], -v[8:9]
	s_and_saveexec_b64 s[4:5], vcc
	s_xor_b64 s[4:5], exec, s[4:5]
	s_cbranch_execz .LBB0_17
; %bb.16:
	v_mov_b32_e32 v73, 0
	v_lshlrev_b64 v[0:1], 4, v[72:73]
	v_mov_b32_e32 v2, s7
	v_add_co_u32_e32 v0, vcc, s6, v0
	v_addc_co_u32_e32 v1, vcc, v2, v1, vcc
	global_load_dwordx4 v[2:5], v[0:1], off
	ds_read_b64 v[0:1], v12 offset:48008
	ds_read_b64 v[10:11], v124 offset:8
	v_add_f64 v[13:14], v[6:7], v[8:9]
	v_add_f64 v[8:9], v[6:7], -v[8:9]
	s_waitcnt lgkmcnt(0)
	v_add_f64 v[15:16], v[0:1], v[10:11]
	v_add_f64 v[0:1], v[10:11], -v[0:1]
	s_waitcnt vmcnt(0)
	v_fma_f64 v[6:7], -v[8:9], v[4:5], v[13:14]
	v_fma_f64 v[10:11], v[15:16], v[4:5], -v[0:1]
	v_fma_f64 v[13:14], v[8:9], v[4:5], v[13:14]
	v_fma_f64 v[17:18], v[15:16], v[4:5], v[0:1]
	;; [unrolled: 1-line block ×4, first 2 shown]
	v_fma_f64 v[0:1], -v[15:16], v[2:3], v[13:14]
	v_fma_f64 v[2:3], v[8:9], v[2:3], v[17:18]
	ds_write_b128 v12, v[4:7] offset:48000
	v_mov_b32_e32 v4, v72
	v_mov_b32_e32 v5, v73
.LBB0_17:
	s_andn2_saveexec_b64 s[4:5], s[4:5]
	s_cbranch_execz .LBB0_19
; %bb.18:
	v_mov_b32_e32 v13, 0
	ds_read_b128 v[4:7], v13 offset:24000
	s_waitcnt lgkmcnt(0)
	v_add_f64 v[8:9], v[4:5], v[4:5]
	v_mul_f64 v[10:11], v[6:7], -2.0
	v_mov_b32_e32 v4, 0
	v_mov_b32_e32 v5, 0
	ds_write_b128 v13, v[8:11] offset:24000
.LBB0_19:
	s_or_b64 exec, exec, s[4:5]
	v_lshlrev_b64 v[4:5], 4, v[4:5]
	v_mov_b32_e32 v6, s7
	v_add_co_u32_e32 v4, vcc, s6, v4
	v_addc_co_u32_e32 v5, vcc, v6, v5, vcc
	global_load_dwordx4 v[6:9], v[4:5], off offset:1600
	global_load_dwordx4 v[13:16], v[4:5], off offset:3200
	s_movk_i32 s28, 0x1000
	v_add_co_u32_e32 v25, vcc, s28, v4
	ds_write_b128 v124, v[0:3]
	v_addc_co_u32_e32 v26, vcc, 0, v5, vcc
	ds_read_b128 v[0:3], v124 offset:1600
	ds_read_b128 v[17:20], v12 offset:46400
	global_load_dwordx4 v[21:24], v[25:26], off offset:704
	s_movk_i32 s4, 0x2000
	s_movk_i32 s29, 0x4000
	s_mov_b32 s14, 0x134454ff
	s_waitcnt lgkmcnt(0)
	v_add_f64 v[10:11], v[0:1], v[17:18]
	v_add_f64 v[27:28], v[19:20], v[2:3]
	v_add_f64 v[17:18], v[0:1], -v[17:18]
	v_add_f64 v[0:1], v[2:3], -v[19:20]
	s_mov_b32 s15, 0xbfee6f0e
	s_mov_b32 s5, 0x3fee6f0e
	;; [unrolled: 1-line block ×14, first 2 shown]
	v_mul_u32_u24_e32 v73, 10, v72
	v_lshl_add_u32 v73, v73, 4, 0
	s_movk_i32 s24, 0xcd
	s_mov_b32 s27, 0x3febb67a
	s_waitcnt vmcnt(2)
	v_fma_f64 v[2:3], v[17:18], v[8:9], v[10:11]
	v_fma_f64 v[19:20], v[27:28], v[8:9], v[0:1]
	v_fma_f64 v[10:11], -v[17:18], v[8:9], v[10:11]
	v_fma_f64 v[29:30], v[27:28], v[8:9], -v[0:1]
	v_fma_f64 v[0:1], -v[27:28], v[6:7], v[2:3]
	v_fma_f64 v[2:3], v[17:18], v[6:7], v[19:20]
	v_fma_f64 v[8:9], v[27:28], v[6:7], v[10:11]
	;; [unrolled: 1-line block ×3, first 2 shown]
	ds_write_b128 v124, v[0:3] offset:1600
	ds_write_b128 v12, v[8:11] offset:46400
	ds_read_b128 v[0:3], v124 offset:3200
	ds_read_b128 v[6:9], v12 offset:44800
	global_load_dwordx4 v[17:20], v[25:26], off offset:2304
	s_waitcnt lgkmcnt(0)
	v_add_f64 v[10:11], v[0:1], v[6:7]
	v_add_f64 v[27:28], v[8:9], v[2:3]
	v_add_f64 v[29:30], v[0:1], -v[6:7]
	v_add_f64 v[0:1], v[2:3], -v[8:9]
	s_waitcnt vmcnt(2)
	v_fma_f64 v[2:3], v[29:30], v[15:16], v[10:11]
	v_fma_f64 v[6:7], v[27:28], v[15:16], v[0:1]
	v_fma_f64 v[8:9], -v[29:30], v[15:16], v[10:11]
	v_fma_f64 v[10:11], v[27:28], v[15:16], -v[0:1]
	v_fma_f64 v[0:1], -v[27:28], v[13:14], v[2:3]
	v_fma_f64 v[2:3], v[29:30], v[13:14], v[6:7]
	v_fma_f64 v[6:7], v[27:28], v[13:14], v[8:9]
	;; [unrolled: 1-line block ×3, first 2 shown]
	ds_write_b128 v124, v[0:3] offset:3200
	ds_write_b128 v12, v[6:9] offset:44800
	ds_read_b128 v[0:3], v124 offset:4800
	ds_read_b128 v[6:9], v12 offset:43200
	global_load_dwordx4 v[13:16], v[25:26], off offset:3904
	s_waitcnt lgkmcnt(0)
	v_add_f64 v[10:11], v[0:1], v[6:7]
	v_add_f64 v[25:26], v[8:9], v[2:3]
	v_add_f64 v[27:28], v[0:1], -v[6:7]
	v_add_f64 v[0:1], v[2:3], -v[8:9]
	s_waitcnt vmcnt(2)
	v_fma_f64 v[2:3], v[27:28], v[23:24], v[10:11]
	v_fma_f64 v[6:7], v[25:26], v[23:24], v[0:1]
	v_fma_f64 v[8:9], -v[27:28], v[23:24], v[10:11]
	v_fma_f64 v[10:11], v[25:26], v[23:24], -v[0:1]
	v_fma_f64 v[0:1], -v[25:26], v[21:22], v[2:3]
	v_fma_f64 v[2:3], v[27:28], v[21:22], v[6:7]
	v_fma_f64 v[6:7], v[25:26], v[21:22], v[8:9]
	;; [unrolled: 1-line block ×3, first 2 shown]
	v_add_co_u32_e32 v10, vcc, s4, v4
	ds_write_b128 v124, v[0:3] offset:4800
	ds_write_b128 v12, v[6:9] offset:43200
	v_addc_co_u32_e32 v11, vcc, 0, v5, vcc
	ds_read_b128 v[0:3], v124 offset:6400
	ds_read_b128 v[6:9], v12 offset:41600
	global_load_dwordx4 v[21:24], v[10:11], off offset:1408
	s_movk_i32 s4, 0x3000
	s_waitcnt lgkmcnt(0)
	v_add_f64 v[25:26], v[0:1], v[6:7]
	v_add_f64 v[27:28], v[8:9], v[2:3]
	v_add_f64 v[29:30], v[0:1], -v[6:7]
	v_add_f64 v[0:1], v[2:3], -v[8:9]
	s_waitcnt vmcnt(2)
	v_fma_f64 v[2:3], v[29:30], v[19:20], v[25:26]
	v_fma_f64 v[6:7], v[27:28], v[19:20], v[0:1]
	v_fma_f64 v[8:9], -v[29:30], v[19:20], v[25:26]
	v_fma_f64 v[19:20], v[27:28], v[19:20], -v[0:1]
	v_fma_f64 v[0:1], -v[27:28], v[17:18], v[2:3]
	v_fma_f64 v[2:3], v[29:30], v[17:18], v[6:7]
	v_fma_f64 v[6:7], v[27:28], v[17:18], v[8:9]
	;; [unrolled: 1-line block ×3, first 2 shown]
	ds_write_b128 v124, v[0:3] offset:6400
	ds_write_b128 v12, v[6:9] offset:41600
	ds_read_b128 v[0:3], v124 offset:8000
	ds_read_b128 v[6:9], v12 offset:40000
	global_load_dwordx4 v[17:20], v[10:11], off offset:3008
	s_waitcnt lgkmcnt(0)
	v_add_f64 v[10:11], v[0:1], v[6:7]
	v_add_f64 v[25:26], v[8:9], v[2:3]
	v_add_f64 v[27:28], v[0:1], -v[6:7]
	v_add_f64 v[0:1], v[2:3], -v[8:9]
	s_waitcnt vmcnt(2)
	v_fma_f64 v[2:3], v[27:28], v[15:16], v[10:11]
	v_fma_f64 v[6:7], v[25:26], v[15:16], v[0:1]
	v_fma_f64 v[8:9], -v[27:28], v[15:16], v[10:11]
	v_fma_f64 v[10:11], v[25:26], v[15:16], -v[0:1]
	v_fma_f64 v[0:1], -v[25:26], v[13:14], v[2:3]
	v_fma_f64 v[2:3], v[27:28], v[13:14], v[6:7]
	v_fma_f64 v[6:7], v[25:26], v[13:14], v[8:9]
	;; [unrolled: 1-line block ×3, first 2 shown]
	v_add_co_u32_e32 v10, vcc, s4, v4
	ds_write_b128 v124, v[0:3] offset:8000
	ds_write_b128 v12, v[6:9] offset:40000
	v_addc_co_u32_e32 v11, vcc, 0, v5, vcc
	ds_read_b128 v[0:3], v124 offset:9600
	ds_read_b128 v[6:9], v12 offset:38400
	global_load_dwordx4 v[13:16], v[10:11], off offset:512
	s_movk_i32 s4, 0x5000
	s_waitcnt lgkmcnt(0)
	v_add_f64 v[25:26], v[0:1], v[6:7]
	v_add_f64 v[27:28], v[8:9], v[2:3]
	v_add_f64 v[29:30], v[0:1], -v[6:7]
	v_add_f64 v[0:1], v[2:3], -v[8:9]
	s_waitcnt vmcnt(2)
	v_fma_f64 v[2:3], v[29:30], v[23:24], v[25:26]
	v_fma_f64 v[6:7], v[27:28], v[23:24], v[0:1]
	v_fma_f64 v[8:9], -v[29:30], v[23:24], v[25:26]
	v_fma_f64 v[23:24], v[27:28], v[23:24], -v[0:1]
	v_fma_f64 v[0:1], -v[27:28], v[21:22], v[2:3]
	v_fma_f64 v[2:3], v[29:30], v[21:22], v[6:7]
	v_fma_f64 v[6:7], v[27:28], v[21:22], v[8:9]
	;; [unrolled: 1-line block ×3, first 2 shown]
	ds_write_b128 v124, v[0:3] offset:9600
	ds_write_b128 v12, v[6:9] offset:38400
	ds_read_b128 v[0:3], v124 offset:11200
	ds_read_b128 v[6:9], v12 offset:36800
	global_load_dwordx4 v[21:24], v[10:11], off offset:2112
	s_waitcnt lgkmcnt(0)
	v_add_f64 v[25:26], v[0:1], v[6:7]
	v_add_f64 v[27:28], v[8:9], v[2:3]
	v_add_f64 v[29:30], v[0:1], -v[6:7]
	v_add_f64 v[0:1], v[2:3], -v[8:9]
	s_waitcnt vmcnt(2)
	v_fma_f64 v[2:3], v[29:30], v[19:20], v[25:26]
	v_fma_f64 v[6:7], v[27:28], v[19:20], v[0:1]
	v_fma_f64 v[8:9], -v[29:30], v[19:20], v[25:26]
	v_fma_f64 v[19:20], v[27:28], v[19:20], -v[0:1]
	v_fma_f64 v[0:1], -v[27:28], v[17:18], v[2:3]
	v_fma_f64 v[2:3], v[29:30], v[17:18], v[6:7]
	v_fma_f64 v[6:7], v[27:28], v[17:18], v[8:9]
	;; [unrolled: 1-line block ×3, first 2 shown]
	ds_write_b128 v124, v[0:3] offset:11200
	ds_write_b128 v12, v[6:9] offset:36800
	ds_read_b128 v[0:3], v124 offset:12800
	ds_read_b128 v[6:9], v12 offset:35200
	global_load_dwordx4 v[17:20], v[10:11], off offset:3712
	s_waitcnt lgkmcnt(0)
	v_add_f64 v[10:11], v[0:1], v[6:7]
	v_add_f64 v[25:26], v[8:9], v[2:3]
	v_add_f64 v[27:28], v[0:1], -v[6:7]
	v_add_f64 v[0:1], v[2:3], -v[8:9]
	s_waitcnt vmcnt(2)
	v_fma_f64 v[2:3], v[27:28], v[15:16], v[10:11]
	v_fma_f64 v[6:7], v[25:26], v[15:16], v[0:1]
	v_fma_f64 v[8:9], -v[27:28], v[15:16], v[10:11]
	v_fma_f64 v[10:11], v[25:26], v[15:16], -v[0:1]
	v_fma_f64 v[0:1], -v[25:26], v[13:14], v[2:3]
	v_fma_f64 v[2:3], v[27:28], v[13:14], v[6:7]
	v_fma_f64 v[6:7], v[25:26], v[13:14], v[8:9]
	;; [unrolled: 1-line block ×3, first 2 shown]
	v_add_co_u32_e32 v10, vcc, s29, v4
	ds_write_b128 v124, v[0:3] offset:12800
	ds_write_b128 v12, v[6:9] offset:35200
	v_addc_co_u32_e32 v11, vcc, 0, v5, vcc
	ds_read_b128 v[0:3], v124 offset:14400
	ds_read_b128 v[6:9], v12 offset:33600
	global_load_dwordx4 v[13:16], v[10:11], off offset:1216
	s_waitcnt lgkmcnt(0)
	v_add_f64 v[25:26], v[0:1], v[6:7]
	v_add_f64 v[27:28], v[8:9], v[2:3]
	v_add_f64 v[29:30], v[0:1], -v[6:7]
	v_add_f64 v[0:1], v[2:3], -v[8:9]
	s_waitcnt vmcnt(2)
	v_fma_f64 v[2:3], v[29:30], v[23:24], v[25:26]
	v_fma_f64 v[6:7], v[27:28], v[23:24], v[0:1]
	v_fma_f64 v[8:9], -v[29:30], v[23:24], v[25:26]
	v_fma_f64 v[23:24], v[27:28], v[23:24], -v[0:1]
	v_fma_f64 v[0:1], -v[27:28], v[21:22], v[2:3]
	v_fma_f64 v[2:3], v[29:30], v[21:22], v[6:7]
	v_fma_f64 v[6:7], v[27:28], v[21:22], v[8:9]
	;; [unrolled: 1-line block ×3, first 2 shown]
	ds_write_b128 v124, v[0:3] offset:14400
	ds_write_b128 v12, v[6:9] offset:33600
	ds_read_b128 v[0:3], v124 offset:16000
	ds_read_b128 v[6:9], v12 offset:32000
	global_load_dwordx4 v[21:24], v[10:11], off offset:2816
	s_waitcnt lgkmcnt(0)
	v_add_f64 v[10:11], v[0:1], v[6:7]
	v_add_f64 v[25:26], v[8:9], v[2:3]
	v_add_f64 v[27:28], v[0:1], -v[6:7]
	v_add_f64 v[0:1], v[2:3], -v[8:9]
	s_waitcnt vmcnt(2)
	v_fma_f64 v[2:3], v[27:28], v[19:20], v[10:11]
	v_fma_f64 v[6:7], v[25:26], v[19:20], v[0:1]
	v_fma_f64 v[8:9], -v[27:28], v[19:20], v[10:11]
	v_fma_f64 v[10:11], v[25:26], v[19:20], -v[0:1]
	v_fma_f64 v[0:1], -v[25:26], v[17:18], v[2:3]
	v_fma_f64 v[2:3], v[27:28], v[17:18], v[6:7]
	v_fma_f64 v[6:7], v[25:26], v[17:18], v[8:9]
	;; [unrolled: 1-line block ×3, first 2 shown]
	v_add_co_u32_e32 v25, vcc, s4, v4
	ds_write_b128 v124, v[0:3] offset:16000
	ds_write_b128 v12, v[6:9] offset:32000
	v_addc_co_u32_e32 v26, vcc, 0, v5, vcc
	ds_read_b128 v[0:3], v124 offset:17600
	ds_read_b128 v[6:9], v12 offset:30400
	global_load_dwordx4 v[17:20], v[25:26], off offset:320
	s_mov_b32 s4, s14
	s_waitcnt lgkmcnt(0)
	v_add_f64 v[4:5], v[0:1], v[6:7]
	v_add_f64 v[10:11], v[8:9], v[2:3]
	v_add_f64 v[6:7], v[0:1], -v[6:7]
	v_add_f64 v[0:1], v[2:3], -v[8:9]
	s_waitcnt vmcnt(2)
	v_fma_f64 v[2:3], v[6:7], v[15:16], v[4:5]
	v_fma_f64 v[8:9], v[10:11], v[15:16], v[0:1]
	v_fma_f64 v[4:5], -v[6:7], v[15:16], v[4:5]
	v_fma_f64 v[15:16], v[10:11], v[15:16], -v[0:1]
	v_fma_f64 v[0:1], -v[10:11], v[13:14], v[2:3]
	v_fma_f64 v[2:3], v[6:7], v[13:14], v[8:9]
	v_fma_f64 v[4:5], v[10:11], v[13:14], v[4:5]
	;; [unrolled: 1-line block ×3, first 2 shown]
	ds_write_b128 v124, v[0:3] offset:17600
	ds_write_b128 v12, v[4:7] offset:30400
	ds_read_b128 v[4:7], v124 offset:19200
	ds_read_b128 v[8:11], v12 offset:28800
	global_load_dwordx4 v[0:3], v[25:26], off offset:1920
	s_waitcnt lgkmcnt(0)
	v_add_f64 v[13:14], v[4:5], v[8:9]
	v_add_f64 v[15:16], v[10:11], v[6:7]
	v_add_f64 v[25:26], v[4:5], -v[8:9]
	v_add_f64 v[4:5], v[6:7], -v[10:11]
	s_waitcnt vmcnt(2)
	v_fma_f64 v[6:7], v[25:26], v[23:24], v[13:14]
	v_fma_f64 v[8:9], v[15:16], v[23:24], v[4:5]
	v_fma_f64 v[10:11], -v[25:26], v[23:24], v[13:14]
	v_fma_f64 v[13:14], v[15:16], v[23:24], -v[4:5]
	v_fma_f64 v[4:5], -v[15:16], v[21:22], v[6:7]
	v_fma_f64 v[6:7], v[25:26], v[21:22], v[8:9]
	v_fma_f64 v[8:9], v[15:16], v[21:22], v[10:11]
	;; [unrolled: 1-line block ×3, first 2 shown]
	ds_write_b128 v124, v[4:7] offset:19200
	ds_write_b128 v12, v[8:11] offset:28800
	ds_read_b128 v[4:7], v124 offset:20800
	ds_read_b128 v[8:11], v12 offset:27200
	s_waitcnt lgkmcnt(0)
	v_add_f64 v[13:14], v[4:5], v[8:9]
	v_add_f64 v[15:16], v[10:11], v[6:7]
	v_add_f64 v[21:22], v[4:5], -v[8:9]
	v_add_f64 v[4:5], v[6:7], -v[10:11]
	s_waitcnt vmcnt(1)
	v_fma_f64 v[6:7], v[21:22], v[19:20], v[13:14]
	v_fma_f64 v[8:9], v[15:16], v[19:20], v[4:5]
	v_fma_f64 v[10:11], -v[21:22], v[19:20], v[13:14]
	v_fma_f64 v[13:14], v[15:16], v[19:20], -v[4:5]
	v_fma_f64 v[4:5], -v[15:16], v[17:18], v[6:7]
	v_fma_f64 v[6:7], v[21:22], v[17:18], v[8:9]
	v_fma_f64 v[8:9], v[15:16], v[17:18], v[10:11]
	;; [unrolled: 1-line block ×3, first 2 shown]
	ds_write_b128 v124, v[4:7] offset:20800
	ds_write_b128 v12, v[8:11] offset:27200
	ds_read_b128 v[13:16], v124 offset:22400
	ds_read_b128 v[17:20], v12 offset:25600
	s_waitcnt lgkmcnt(0)
	v_add_f64 v[8:9], v[13:14], v[17:18]
	v_add_f64 v[4:5], v[19:20], v[15:16]
	v_add_f64 v[6:7], v[13:14], -v[17:18]
	v_add_f64 v[10:11], v[15:16], -v[19:20]
	s_waitcnt vmcnt(0)
	v_fma_f64 v[13:14], v[6:7], v[2:3], v[8:9]
	v_fma_f64 v[15:16], v[4:5], v[2:3], v[10:11]
	v_fma_f64 v[17:18], -v[6:7], v[2:3], v[8:9]
	v_fma_f64 v[19:20], v[4:5], v[2:3], -v[10:11]
	v_fma_f64 v[8:9], -v[4:5], v[0:1], v[13:14]
	v_fma_f64 v[10:11], v[6:7], v[0:1], v[15:16]
	v_fma_f64 v[2:3], v[4:5], v[0:1], v[17:18]
	v_fma_f64 v[4:5], v[6:7], v[0:1], v[19:20]
	ds_write_b128 v124, v[8:11] offset:22400
	ds_write_b128 v12, v[2:5] offset:25600
	s_waitcnt lgkmcnt(0)
	s_barrier
	s_barrier
	ds_read_b128 v[12:15], v124 offset:4800
	ds_read_b128 v[20:23], v124 offset:6400
	;; [unrolled: 1-line block ×28, first 2 shown]
	ds_read_b128 v[118:121], v124
	ds_read_b128 v[125:128], v124 offset:46400
	s_waitcnt lgkmcnt(5)
	v_add_f64 v[122:123], v[90:91], v[102:103]
	s_waitcnt lgkmcnt(3)
	v_add_f64 v[129:130], v[98:99], v[110:111]
	v_add_f64 v[131:132], v[92:93], v[104:105]
	;; [unrolled: 1-line block ×3, first 2 shown]
	s_waitcnt lgkmcnt(1)
	v_add_f64 v[135:136], v[118:119], v[98:99]
	v_add_f64 v[137:138], v[120:121], v[100:101]
	;; [unrolled: 1-line block ×11, first 2 shown]
	v_add_f64 v[139:140], v[100:101], -v[112:113]
	v_add_f64 v[141:142], v[98:99], -v[90:91]
	;; [unrolled: 1-line block ×10, first 2 shown]
	v_add_f64 v[161:162], v[24:25], v[48:49]
	v_add_f64 v[171:172], v[26:27], -v[50:51]
	v_add_f64 v[173:174], v[24:25], -v[32:33]
	v_add_f64 v[175:176], v[32:33], -v[24:25]
	v_add_f64 v[24:25], v[24:25], -v[48:49]
	v_add_f64 v[177:178], v[26:27], -v[34:35]
	v_add_f64 v[26:27], v[34:35], -v[26:27]
	v_add_f64 v[179:180], v[34:35], -v[42:43]
	v_add_f64 v[181:182], v[32:33], -v[40:41]
	v_add_f64 v[183:184], v[48:49], -v[40:41]
	v_add_f64 v[185:186], v[56:57], v[60:61]
	v_add_f64 v[187:188], v[68:69], v[82:83]
	;; [unrolled: 1-line block ×3, first 2 shown]
	v_add_f64 v[201:202], v[42:43], -v[50:51]
	v_add_f64 v[205:206], v[68:69], -v[56:57]
	;; [unrolled: 1-line block ×9, first 2 shown]
	v_add_f64 v[227:228], v[36:37], v[44:45]
	v_add_f64 v[229:230], v[38:39], -v[46:47]
	v_add_f64 v[231:232], v[28:29], -v[36:37]
	v_add_f64 v[233:234], v[36:37], -v[28:29]
	v_add_f64 v[235:236], v[38:39], v[46:47]
	v_add_f64 v[237:238], v[36:37], -v[44:45]
	v_add_f64 v[239:240], v[30:31], -v[38:39]
	;; [unrolled: 1-line block ×4, first 2 shown]
	v_add_f64 v[245:246], v[28:29], v[52:53]
	v_add_f64 v[247:248], v[28:29], -v[52:53]
	v_add_f64 v[28:29], v[30:31], v[54:55]
	v_add_f64 v[30:31], v[52:53], -v[44:45]
	v_fma_f64 v[122:123], v[122:123], -0.5, v[118:119]
	v_fma_f64 v[118:119], v[129:130], -0.5, v[118:119]
	v_fma_f64 v[129:130], v[131:132], -0.5, v[120:121]
	v_fma_f64 v[120:121], v[133:134], -0.5, v[120:121]
	v_add_f64 v[90:91], v[135:136], v[90:91]
	v_add_f64 v[92:93], v[137:138], v[92:93]
	v_fma_f64 v[131:132], v[159:160], -0.5, v[12:13]
	v_fma_f64 v[133:134], v[163:164], -0.5, v[14:15]
	;; [unrolled: 1-line block ×3, first 2 shown]
	v_add_f64 v[32:33], v[167:168], v[32:33]
	v_add_f64 v[34:35], v[169:170], v[34:35]
	;; [unrolled: 1-line block ×6, first 2 shown]
	v_add_f64 v[98:99], v[98:99], -v[110:111]
	v_add_f64 v[155:156], v[112:113], -v[104:105]
	v_add_f64 v[191:192], v[70:71], v[84:85]
	v_add_f64 v[199:200], v[50:51], -v[42:43]
	v_add_f64 v[203:204], v[70:71], -v[84:85]
	;; [unrolled: 1-line block ×6, first 2 shown]
	v_fma_f64 v[12:13], v[161:162], -0.5, v[12:13]
	v_fma_f64 v[135:136], v[185:186], -0.5, v[64:65]
	v_fma_f64 v[137:138], v[187:188], -0.5, v[64:65]
	v_fma_f64 v[163:164], v[227:228], -0.5, v[20:21]
	v_fma_f64 v[165:166], v[245:246], -0.5, v[20:21]
	v_fma_f64 v[167:168], v[235:236], -0.5, v[22:23]
	v_fma_f64 v[169:170], v[28:29], -0.5, v[22:23]
	v_add_f64 v[64:65], v[141:142], v[151:152]
	v_add_f64 v[141:142], v[173:174], v[183:184]
	;; [unrolled: 1-line block ×15, first 2 shown]
	v_fma_f64 v[46:47], v[149:150], s[14:15], v[120:121]
	v_fma_f64 v[56:57], v[149:150], s[4:5], v[120:121]
	v_fma_f64 v[62:63], v[181:182], s[14:15], v[14:15]
	v_fma_f64 v[14:15], v[181:182], s[4:5], v[14:15]
	v_fma_f64 v[68:69], v[24:25], s[4:5], v[133:134]
	v_fma_f64 v[92:93], v[171:172], s[14:15], v[131:132]
	v_add_f64 v[193:194], v[40:41], -v[48:49]
	v_add_f64 v[217:218], v[60:61], -v[82:83]
	;; [unrolled: 1-line block ×3, first 2 shown]
	v_fma_f64 v[159:160], v[189:190], -0.5, v[66:67]
	v_fma_f64 v[161:162], v[191:192], -0.5, v[66:67]
	v_add_f64 v[66:67], v[145:146], v[155:156]
	v_add_f64 v[145:146], v[177:178], v[199:200]
	;; [unrolled: 1-line block ×3, first 2 shown]
	v_fma_f64 v[38:39], v[147:148], s[4:5], v[118:119]
	v_fma_f64 v[40:41], v[147:148], s[14:15], v[118:119]
	;; [unrolled: 1-line block ×12, first 2 shown]
	v_add_f64 v[110:111], v[20:21], v[110:111]
	v_add_f64 v[112:113], v[22:23], v[112:113]
	;; [unrolled: 1-line block ×8, first 2 shown]
	v_fma_f64 v[46:47], v[98:99], s[6:7], v[46:47]
	v_fma_f64 v[50:51], v[98:99], s[8:9], v[56:57]
	v_fma_f64 v[52:53], v[24:25], s[6:7], v[62:63]
	v_fma_f64 v[54:55], v[24:25], s[8:9], v[14:15]
	v_fma_f64 v[68:69], v[181:182], s[6:7], v[68:69]
	v_fma_f64 v[82:83], v[179:180], s[8:9], v[92:93]
	v_add_f64 v[151:152], v[175:176], v[193:194]
	v_add_f64 v[175:176], v[239:240], v[251:252]
	v_fma_f64 v[120:121], v[203:204], s[14:15], v[135:136]
	v_fma_f64 v[122:123], v[209:210], s[4:5], v[159:160]
	;; [unrolled: 1-line block ×14, first 2 shown]
	v_add_f64 v[20:21], v[110:111], v[26:27]
	v_add_f64 v[22:23], v[112:113], v[28:29]
	v_add_f64 v[24:25], v[110:111], -v[26:27]
	v_add_f64 v[26:27], v[112:113], -v[28:29]
	v_add_f64 v[28:29], v[48:49], v[34:35]
	v_add_f64 v[30:31], v[32:33], v[36:37]
	v_add_f64 v[12:13], v[48:49], -v[34:35]
	v_add_f64 v[14:15], v[32:33], -v[36:37]
	v_fma_f64 v[46:47], v[100:101], s[16:17], v[46:47]
	v_fma_f64 v[100:101], v[100:101], s[16:17], v[50:51]
	;; [unrolled: 1-line block ×21, first 2 shown]
	v_mul_f64 v[60:61], v[36:37], s[8:9]
	v_mul_f64 v[66:67], v[50:51], s[6:7]
	;; [unrolled: 1-line block ×6, first 2 shown]
	v_add_f64 v[177:178], v[241:242], v[253:254]
	v_fma_f64 v[131:132], v[229:230], s[4:5], v[165:166]
	v_fma_f64 v[104:105], v[247:248], s[6:7], v[129:130]
	;; [unrolled: 1-line block ×4, first 2 shown]
	v_mul_f64 v[90:91], v[52:53], s[8:9]
	v_mul_f64 v[52:53], v[52:53], s[18:19]
	;; [unrolled: 1-line block ×4, first 2 shown]
	v_fma_f64 v[50:51], v[50:51], s[22:23], v[60:61]
	v_fma_f64 v[60:61], v[36:37], s[22:23], v[66:67]
	;; [unrolled: 1-line block ×10, first 2 shown]
	v_add_f64 v[32:33], v[42:43], v[50:51]
	v_add_f64 v[34:35], v[44:45], v[60:61]
	v_add_f64 v[36:37], v[42:43], -v[50:51]
	v_add_f64 v[38:39], v[44:45], -v[60:61]
	v_add_f64 v[40:41], v[48:49], v[66:67]
	v_add_f64 v[42:43], v[46:47], v[82:83]
	v_add_f64 v[44:45], v[48:49], -v[66:67]
	v_add_f64 v[46:47], v[46:47], -v[82:83]
	;; [unrolled: 4-line block ×3, first 2 shown]
	v_add_f64 v[100:101], v[233:234], v[249:250]
	v_fma_f64 v[82:83], v[243:244], s[8:9], v[131:132]
	v_fma_f64 v[84:85], v[177:178], s[16:17], v[104:105]
	v_add_f64 v[56:57], v[62:63], v[90:91]
	v_add_f64 v[58:59], v[64:65], v[112:113]
	v_add_f64 v[60:61], v[62:63], -v[90:91]
	v_add_f64 v[62:63], v[64:65], -v[112:113]
	v_add_f64 v[64:65], v[68:69], v[92:93]
	v_add_f64 v[66:67], v[70:71], v[98:99]
	v_add_f64 v[68:69], v[68:69], -v[92:93]
	v_add_f64 v[70:71], v[70:71], -v[98:99]
	v_fma_f64 v[82:83], v[100:101], s[16:17], v[82:83]
	v_mul_f64 v[90:91], v[84:85], s[14:15]
	v_fma_f64 v[92:93], v[213:214], s[4:5], v[137:138]
	v_fma_f64 v[98:99], v[213:214], s[14:15], v[137:138]
	v_mul_f64 v[84:85], v[84:85], s[16:17]
	v_add_f64 v[102:103], v[207:208], v[217:218]
	v_fma_f64 v[104:105], v[237:238], s[4:5], v[169:170]
	v_fma_f64 v[110:111], v[215:216], s[14:15], v[161:162]
	;; [unrolled: 1-line block ×11, first 2 shown]
	v_add_f64 v[112:113], v[211:212], v[221:222]
	v_fma_f64 v[92:93], v[102:103], s[16:17], v[92:93]
	v_fma_f64 v[102:103], v[102:103], s[16:17], v[98:99]
	;; [unrolled: 1-line block ×12, first 2 shown]
	v_add_f64 v[82:83], v[92:93], v[90:91]
	v_fma_f64 v[112:113], v[112:113], s[16:17], v[120:121]
	v_fma_f64 v[100:101], v[100:101], s[16:17], v[110:111]
	v_mul_f64 v[110:111], v[122:123], s[14:15]
	v_mul_f64 v[122:123], v[122:123], s[20:21]
	v_fma_f64 v[120:121], v[213:214], s[6:7], v[129:130]
	v_fma_f64 v[129:130], v[215:216], s[8:9], v[131:132]
	;; [unrolled: 1-line block ×3, first 2 shown]
	v_mul_f64 v[131:132], v[133:134], s[8:9]
	v_mul_f64 v[133:134], v[133:134], s[18:19]
	v_add_f64 v[84:85], v[104:105], v[118:119]
	v_fma_f64 v[110:111], v[100:101], s[20:21], v[110:111]
	v_fma_f64 v[122:123], v[100:101], s[4:5], v[122:123]
	v_add_f64 v[90:91], v[92:93], -v[90:91]
	v_add_f64 v[92:93], v[104:105], -v[118:119]
	v_fma_f64 v[118:119], v[155:156], s[16:17], v[120:121]
	v_fma_f64 v[120:121], v[157:158], s[16:17], v[129:130]
	;; [unrolled: 1-line block ×4, first 2 shown]
	v_add_f64 v[133:134], v[0:1], v[78:79]
	v_add_f64 v[135:136], v[2:3], v[80:81]
	;; [unrolled: 1-line block ×4, first 2 shown]
	v_add_f64 v[102:103], v[102:103], -v[110:111]
	v_add_f64 v[104:105], v[112:113], -v[122:123]
	v_add_f64 v[110:111], v[118:119], v[129:130]
	v_add_f64 v[118:119], v[118:119], -v[129:130]
	v_add_f64 v[122:123], v[133:134], v[16:17]
	v_add_f64 v[129:130], v[135:136], v[18:19]
	v_add_f64 v[112:113], v[120:121], v[131:132]
	v_add_f64 v[120:121], v[120:121], -v[131:132]
	v_add_f64 v[131:132], v[16:17], v[8:9]
	v_add_f64 v[133:134], v[18:19], -v[10:11]
	v_add_f64 v[135:136], v[78:79], -v[16:17]
	;; [unrolled: 1-line block ×3, first 2 shown]
	v_add_f64 v[139:140], v[18:19], v[10:11]
	v_add_f64 v[141:142], v[16:17], -v[8:9]
	v_add_f64 v[16:17], v[80:81], -v[18:19]
	;; [unrolled: 1-line block ×4, first 2 shown]
	v_add_f64 v[145:146], v[78:79], v[86:87]
	v_add_f64 v[147:148], v[78:79], -v[86:87]
	v_add_f64 v[78:79], v[80:81], v[88:89]
	v_add_f64 v[80:81], v[122:123], v[8:9]
	;; [unrolled: 1-line block ×6, first 2 shown]
	v_add_f64 v[151:152], v[86:87], -v[8:9]
	v_add_f64 v[8:9], v[8:9], -v[86:87]
	;; [unrolled: 1-line block ×4, first 2 shown]
	v_add_f64 v[80:81], v[80:81], v[86:87]
	v_add_f64 v[86:87], v[122:123], v[88:89]
	;; [unrolled: 1-line block ×5, first 2 shown]
	s_waitcnt lgkmcnt(0)
	v_add_f64 v[165:166], v[94:95], -v[125:126]
	v_fma_f64 v[155:156], v[155:156], -0.5, v[6:7]
	v_add_f64 v[149:150], v[108:109], -v[116:117]
	v_add_f64 v[157:158], v[94:95], -v[106:107]
	v_add_f64 v[159:160], v[106:107], -v[94:95]
	v_add_f64 v[106:107], v[106:107], -v[114:115]
	v_add_f64 v[161:162], v[96:97], -v[108:109]
	v_add_f64 v[108:109], v[108:109], -v[96:97]
	v_add_f64 v[163:164], v[96:97], -v[127:128]
	v_add_f64 v[96:97], v[96:97], v[127:128]
	v_add_f64 v[88:89], v[88:89], v[114:115]
	;; [unrolled: 1-line block ×3, first 2 shown]
	v_fma_f64 v[129:130], v[129:130], -0.5, v[4:5]
	v_add_f64 v[169:170], v[127:128], -v[116:117]
	v_fma_f64 v[171:172], v[165:166], s[4:5], v[155:156]
	v_add_f64 v[94:95], v[94:95], v[125:126]
	v_add_f64 v[167:168], v[125:126], -v[114:115]
	v_add_f64 v[114:115], v[114:115], -v[125:126]
	;; [unrolled: 1-line block ×3, first 2 shown]
	v_add_f64 v[88:89], v[88:89], v[125:126]
	v_add_f64 v[122:123], v[122:123], v[127:128]
	v_fma_f64 v[125:126], v[163:164], s[14:15], v[129:130]
	v_fma_f64 v[127:128], v[131:132], -0.5, v[0:1]
	v_add_f64 v[131:132], v[161:162], v[169:170]
	v_fma_f64 v[161:162], v[106:107], s[6:7], v[171:172]
	v_fma_f64 v[96:97], v[96:97], -0.5, v[6:7]
	v_fma_f64 v[145:146], v[145:146], -0.5, v[0:1]
	;; [unrolled: 1-line block ×3, first 2 shown]
	v_add_f64 v[157:158], v[157:158], v[167:168]
	v_fma_f64 v[6:7], v[149:150], s[8:9], v[125:126]
	v_fma_f64 v[125:126], v[78:79], -0.5, v[2:3]
	v_fma_f64 v[78:79], v[94:95], -0.5, v[4:5]
	v_fma_f64 v[94:95], v[131:132], s[16:17], v[161:162]
	v_add_f64 v[0:1], v[80:81], v[88:89]
	v_add_f64 v[4:5], v[80:81], -v[88:89]
	v_fma_f64 v[80:81], v[106:107], s[14:15], v[96:97]
	v_fma_f64 v[88:89], v[143:144], s[14:15], v[127:128]
	;; [unrolled: 1-line block ×3, first 2 shown]
	v_add_f64 v[135:136], v[135:136], v[151:152]
	v_fma_f64 v[161:162], v[147:148], s[4:5], v[139:140]
	v_mul_f64 v[151:152], v[94:95], s[8:9]
	v_add_f64 v[108:109], v[108:109], v[116:117]
	v_fma_f64 v[116:117], v[149:150], s[4:5], v[78:79]
	v_fma_f64 v[80:81], v[165:166], s[6:7], v[80:81]
	;; [unrolled: 1-line block ×3, first 2 shown]
	v_mul_f64 v[167:168], v[6:7], s[6:7]
	v_add_f64 v[153:154], v[16:17], v[153:154]
	v_add_f64 v[114:115], v[159:160], v[114:115]
	v_fma_f64 v[16:17], v[6:7], s[22:23], v[151:152]
	v_fma_f64 v[6:7], v[141:142], s[6:7], v[161:162]
	;; [unrolled: 1-line block ×6, first 2 shown]
	v_add_f64 v[137:138], v[137:138], v[8:9]
	v_add_f64 v[169:170], v[18:19], v[10:11]
	v_fma_f64 v[96:97], v[106:107], s[4:5], v[96:97]
	v_fma_f64 v[161:162], v[153:154], s[16:17], v[6:7]
	;; [unrolled: 1-line block ×3, first 2 shown]
	v_mul_f64 v[167:168], v[80:81], s[14:15]
	v_mul_f64 v[18:19], v[80:81], s[16:17]
	v_add_f64 v[8:9], v[88:89], v[16:17]
	v_add_f64 v[16:17], v[88:89], -v[16:17]
	v_fma_f64 v[88:89], v[165:166], s[14:15], v[155:156]
	v_add_f64 v[2:3], v[86:87], v[122:123]
	v_add_f64 v[6:7], v[86:87], -v[122:123]
	v_add_f64 v[10:11], v[161:162], v[94:95]
	v_fma_f64 v[86:87], v[116:117], s[16:17], v[167:168]
	v_fma_f64 v[116:117], v[116:117], s[4:5], v[18:19]
	v_add_f64 v[18:19], v[161:162], -v[94:95]
	v_fma_f64 v[94:95], v[149:150], s[14:15], v[78:79]
	v_fma_f64 v[96:97], v[165:166], s[8:9], v[96:97]
	;; [unrolled: 1-line block ×19, first 2 shown]
	v_mul_f64 v[114:115], v[96:97], s[14:15]
	v_mul_f64 v[96:97], v[96:97], s[20:21]
	v_fma_f64 v[125:126], v[133:134], s[6:7], v[125:126]
	v_fma_f64 v[127:128], v[141:142], s[8:9], v[127:128]
	v_fma_f64 v[129:130], v[157:158], s[16:17], v[129:130]
	v_mul_f64 v[131:132], v[88:89], s[8:9]
	v_mul_f64 v[88:89], v[88:89], s[18:19]
	v_fma_f64 v[122:123], v[137:138], s[16:17], v[80:81]
	v_fma_f64 v[151:152], v[169:170], s[16:17], v[151:152]
	;; [unrolled: 1-line block ×10, first 2 shown]
	v_add_f64 v[78:79], v[122:123], v[86:87]
	v_add_f64 v[80:81], v[151:152], v[116:117]
	v_add_f64 v[86:87], v[122:123], -v[86:87]
	v_add_f64 v[88:89], v[151:152], -v[116:117]
	v_add_f64 v[94:95], v[108:109], v[106:107]
	v_add_f64 v[96:97], v[133:134], v[114:115]
	v_add_f64 v[106:107], v[108:109], -v[106:107]
	v_add_f64 v[108:109], v[133:134], -v[114:115]
	;; [unrolled: 4-line block ×3, first 2 shown]
	s_barrier
	ds_write_b128 v73, v[20:23]
	ds_write_b128 v73, v[32:35] offset:16
	ds_write_b128 v73, v[40:43] offset:32
	;; [unrolled: 1-line block ×29, first 2 shown]
	v_mul_lo_u16_sdwa v0, v72, s24 dst_sel:DWORD dst_unused:UNUSED_PAD src0_sel:BYTE_0 src1_sel:DWORD
	v_lshrrev_b16_e32 v56, 11, v0
	v_mul_lo_u16_e32 v0, 10, v56
	v_sub_u16_e32 v57, v72, v0
	v_mov_b32_e32 v0, 5
	v_lshlrev_b32_sdwa v1, v0, v57 dst_sel:DWORD dst_unused:UNUSED_PAD src0_sel:DWORD src1_sel:BYTE_0
	s_waitcnt lgkmcnt(0)
	s_barrier
	global_load_dwordx4 v[8:11], v1, s[12:13]
	global_load_dwordx4 v[4:7], v1, s[12:13] offset:16
	v_add_u16_e32 v45, 0x64, v72
	v_mul_lo_u16_sdwa v1, v45, s24 dst_sel:DWORD dst_unused:UNUSED_PAD src0_sel:BYTE_0 src1_sel:DWORD
	v_lshrrev_b16_e32 v55, 11, v1
	v_mul_lo_u16_e32 v1, 10, v55
	v_sub_u16_e32 v54, v45, v1
	v_lshlrev_b32_sdwa v0, v0, v54 dst_sel:DWORD dst_unused:UNUSED_PAD src0_sel:DWORD src1_sel:BYTE_0
	s_mov_b32 s24, 0xcccd
	v_add_u32_e32 v44, 0xc8, v72
	global_load_dwordx4 v[12:15], v0, s[12:13]
	global_load_dwordx4 v[16:19], v0, s[12:13] offset:16
	v_mul_u32_u24_sdwa v0, v44, s24 dst_sel:DWORD dst_unused:UNUSED_PAD src0_sel:WORD_0 src1_sel:DWORD
	v_lshrrev_b32_e32 v53, 19, v0
	v_mul_lo_u16_e32 v0, 10, v53
	v_sub_u16_e32 v52, v44, v0
	v_lshlrev_b32_e32 v0, 5, v52
	global_load_dwordx4 v[20:23], v0, s[12:13]
	global_load_dwordx4 v[24:27], v0, s[12:13] offset:16
	v_add_u32_e32 v0, 0x12c, v72
	v_mul_u32_u24_sdwa v1, v0, s24 dst_sel:DWORD dst_unused:UNUSED_PAD src0_sel:WORD_0 src1_sel:DWORD
	v_lshrrev_b32_e32 v51, 19, v1
	v_mul_lo_u16_e32 v1, 10, v51
	v_sub_u16_e32 v50, v0, v1
	v_lshlrev_b32_e32 v0, 5, v50
	global_load_dwordx4 v[28:31], v0, s[12:13]
	global_load_dwordx4 v[32:35], v0, s[12:13] offset:16
	v_add_u32_e32 v0, 0x190, v72
	;; [unrolled: 8-line block ×3, first 2 shown]
	ds_read_b128 v[66:69], v124 offset:16000
	v_mul_u32_u24_sdwa v1, v0, s24 dst_sel:DWORD dst_unused:UNUSED_PAD src0_sel:WORD_0 src1_sel:DWORD
	v_lshrrev_b32_e32 v46, 19, v1
	v_mul_lo_u16_e32 v1, 10, v46
	v_sub_u16_e32 v47, v0, v1
	ds_read_b128 v[0:3], v124 offset:14400
	v_lshlrev_b32_e32 v60, 5, v47
	global_load_dwordx4 v[78:81], v60, s[12:13]
	global_load_dwordx4 v[82:85], v60, s[12:13] offset:16
	v_add_u32_e32 v60, 0x258, v72
	v_mul_u32_u24_sdwa v61, v60, s24 dst_sel:DWORD dst_unused:UNUSED_PAD src0_sel:WORD_0 src1_sel:DWORD
	v_lshrrev_b32_e32 v64, 19, v61
	v_mul_lo_u16_e32 v61, 10, v64
	v_sub_u16_e32 v65, v60, v61
	v_lshlrev_b32_e32 v60, 5, v65
	global_load_dwordx4 v[94:97], v60, s[12:13]
	global_load_dwordx4 v[98:101], v60, s[12:13] offset:16
	ds_read_b128 v[86:89], v124 offset:32000
	ds_read_b128 v[90:93], v124 offset:30400
	v_mul_u32_u24_e32 v56, 0x1e0, v56
	v_mul_u32_u24_e32 v53, 0x1e0, v53
	v_lshlrev_b32_e32 v52, 4, v52
	v_mul_u32_u24_e32 v51, 0x1e0, v51
	v_lshlrev_b32_e32 v50, 4, v50
	;; [unrolled: 2-line block ×3, first 2 shown]
	s_waitcnt vmcnt(13) lgkmcnt(3)
	v_mul_f64 v[58:59], v[68:69], v[10:11]
	v_mul_f64 v[10:11], v[66:67], v[10:11]
	s_waitcnt vmcnt(12) lgkmcnt(1)
	v_mul_f64 v[70:71], v[88:89], v[6:7]
	v_mul_f64 v[6:7], v[86:87], v[6:7]
	v_fma_f64 v[122:123], v[66:67], v[8:9], v[58:59]
	v_add_u32_e32 v58, 0x2bc, v72
	v_mul_u32_u24_sdwa v59, v58, s24 dst_sel:DWORD dst_unused:UNUSED_PAD src0_sel:WORD_0 src1_sel:DWORD
	v_lshrrev_b32_e32 v63, 19, v59
	v_mul_lo_u16_e32 v59, 10, v63
	v_sub_u16_e32 v62, v58, v59
	v_lshlrev_b32_e32 v58, 5, v62
	global_load_dwordx4 v[102:105], v58, s[12:13]
	global_load_dwordx4 v[106:109], v58, s[12:13] offset:16
	v_add_u32_e32 v58, 0x320, v72
	v_mul_u32_u24_sdwa v59, v58, s24 dst_sel:DWORD dst_unused:UNUSED_PAD src0_sel:WORD_0 src1_sel:DWORD
	v_lshrrev_b32_e32 v60, 19, v59
	v_mul_lo_u16_e32 v59, 10, v60
	v_sub_u16_e32 v61, v58, v59
	v_lshlrev_b32_e32 v58, 5, v61
	global_load_dwordx4 v[114:117], v58, s[12:13]
	global_load_dwordx4 v[125:128], v58, s[12:13] offset:16
	;; [unrolled: 8-line block ×3, first 2 shown]
	ds_read_b128 v[110:113], v124 offset:17600
	ds_read_b128 v[118:121], v124 offset:19200
	;; [unrolled: 1-line block ×4, first 2 shown]
	v_fma_f64 v[147:148], v[68:69], v[8:9], -v[10:11]
	s_waitcnt vmcnt(17) lgkmcnt(3)
	v_mul_f64 v[66:67], v[112:113], v[14:15]
	s_waitcnt vmcnt(15) lgkmcnt(2)
	v_mul_f64 v[8:9], v[120:121], v[22:23]
	s_waitcnt lgkmcnt(1)
	v_mul_f64 v[145:146], v[131:132], v[18:19]
	v_mul_f64 v[18:19], v[129:130], v[18:19]
	;; [unrolled: 1-line block ×3, first 2 shown]
	v_fma_f64 v[70:71], v[86:87], v[4:5], v[70:71]
	v_fma_f64 v[86:87], v[88:89], v[4:5], -v[6:7]
	ds_read_b128 v[4:7], v124 offset:20800
	v_fma_f64 v[149:150], v[110:111], v[12:13], v[66:67]
	v_mov_b32_e32 v73, 4
	v_fma_f64 v[129:130], v[129:130], v[16:17], v[145:146]
	v_fma_f64 v[131:132], v[131:132], v[16:17], -v[18:19]
	v_mul_f64 v[16:17], v[118:119], v[22:23]
	s_waitcnt vmcnt(14) lgkmcnt(1)
	v_mul_f64 v[18:19], v[139:140], v[26:27]
	v_mul_f64 v[22:23], v[137:138], v[26:27]
	v_fma_f64 v[118:119], v[118:119], v[20:21], v[8:9]
	ds_read_b128 v[8:11], v124 offset:22400
	s_waitcnt vmcnt(13) lgkmcnt(1)
	v_mul_f64 v[26:27], v[6:7], v[30:31]
	v_fma_f64 v[151:152], v[112:113], v[12:13], -v[14:15]
	ds_read_b128 v[12:15], v124 offset:36800
	v_mul_f64 v[30:31], v[4:5], v[30:31]
	v_fma_f64 v[120:121], v[120:121], v[20:21], -v[16:17]
	v_fma_f64 v[137:138], v[137:138], v[24:25], v[18:19]
	ds_read_b128 v[16:19], v124 offset:38400
	v_fma_f64 v[139:140], v[139:140], v[24:25], -v[22:23]
	s_waitcnt vmcnt(12) lgkmcnt(1)
	v_mul_f64 v[20:21], v[14:15], v[34:35]
	v_mul_f64 v[22:23], v[12:13], v[34:35]
	s_waitcnt vmcnt(11)
	v_mul_f64 v[24:25], v[10:11], v[38:39]
	v_fma_f64 v[145:146], v[4:5], v[28:29], v[26:27]
	v_mul_f64 v[26:27], v[8:9], v[38:39]
	s_waitcnt vmcnt(10) lgkmcnt(0)
	v_mul_f64 v[34:35], v[18:19], v[42:43]
	v_fma_f64 v[153:154], v[6:7], v[28:29], -v[30:31]
	v_mul_f64 v[28:29], v[16:17], v[42:43]
	ds_read_b128 v[4:7], v124 offset:24000
	v_fma_f64 v[155:156], v[12:13], v[32:33], v[20:21]
	v_fma_f64 v[157:158], v[14:15], v[32:33], -v[22:23]
	v_fma_f64 v[159:160], v[8:9], v[36:37], v[24:25]
	v_fma_f64 v[161:162], v[10:11], v[36:37], -v[26:27]
	ds_read_b128 v[8:11], v124 offset:25600
	ds_read_b128 v[12:15], v124 offset:40000
	s_waitcnt vmcnt(9) lgkmcnt(2)
	v_mul_f64 v[20:21], v[6:7], v[80:81]
	v_mul_f64 v[22:23], v[4:5], v[80:81]
	v_fma_f64 v[163:164], v[16:17], v[40:41], v[34:35]
	v_fma_f64 v[165:166], v[18:19], v[40:41], -v[28:29]
	ds_read_b128 v[16:19], v124 offset:41600
	s_waitcnt vmcnt(8) lgkmcnt(1)
	v_mul_f64 v[24:25], v[14:15], v[84:85]
	v_mul_f64 v[26:27], v[12:13], v[84:85]
	s_waitcnt vmcnt(7)
	v_mul_f64 v[28:29], v[10:11], v[96:97]
	v_mul_f64 v[32:33], v[8:9], v[96:97]
	v_fma_f64 v[36:37], v[4:5], v[78:79], v[20:21]
	v_fma_f64 v[42:43], v[6:7], v[78:79], -v[22:23]
	ds_read_b128 v[4:7], v124 offset:27200
	s_waitcnt vmcnt(6) lgkmcnt(1)
	v_mul_f64 v[20:21], v[18:19], v[100:101]
	v_mul_f64 v[66:67], v[16:17], v[100:101]
	v_fma_f64 v[38:39], v[12:13], v[82:83], v[24:25]
	v_fma_f64 v[40:41], v[14:15], v[82:83], -v[26:27]
	v_fma_f64 v[30:31], v[8:9], v[94:95], v[28:29]
	v_fma_f64 v[34:35], v[10:11], v[94:95], -v[32:33]
	ds_read_b128 v[8:11], v124 offset:43200
	ds_read_b128 v[12:15], v124 offset:28800
	v_add_f64 v[84:85], v[122:123], v[70:71]
	v_fma_f64 v[28:29], v[16:17], v[98:99], v[20:21]
	v_fma_f64 v[32:33], v[18:19], v[98:99], -v[66:67]
	s_waitcnt vmcnt(5) lgkmcnt(2)
	v_mul_f64 v[16:17], v[6:7], v[104:105]
	v_mul_f64 v[18:19], v[4:5], v[104:105]
	ds_read_b128 v[66:69], v124 offset:44800
	s_waitcnt vmcnt(4) lgkmcnt(2)
	v_mul_f64 v[24:25], v[8:9], v[108:109]
	s_waitcnt vmcnt(3) lgkmcnt(1)
	v_mul_f64 v[78:79], v[14:15], v[116:117]
	v_mul_f64 v[80:81], v[12:13], v[116:117]
	;; [unrolled: 1-line block ×3, first 2 shown]
	v_add_f64 v[88:89], v[147:148], v[86:87]
	v_fma_f64 v[22:23], v[4:5], v[102:103], v[16:17]
	v_fma_f64 v[26:27], v[6:7], v[102:103], -v[18:19]
	v_lshlrev_b32_sdwa v57, v73, v57 dst_sel:DWORD dst_unused:UNUSED_PAD src0_sel:DWORD src1_sel:BYTE_0
	v_fma_f64 v[24:25], v[10:11], v[106:107], -v[24:25]
	v_fma_f64 v[4:5], v[12:13], v[114:115], v[78:79]
	v_fma_f64 v[18:19], v[14:15], v[114:115], -v[80:81]
	ds_read_b128 v[78:81], v124 offset:46400
	s_waitcnt vmcnt(2) lgkmcnt(1)
	v_mul_f64 v[82:83], v[68:69], v[127:128]
	v_mul_f64 v[6:7], v[66:67], v[127:128]
	s_waitcnt vmcnt(1)
	v_mul_f64 v[10:11], v[92:93], v[135:136]
	v_fma_f64 v[20:21], v[8:9], v[106:107], v[20:21]
	s_waitcnt vmcnt(0) lgkmcnt(0)
	v_mul_f64 v[12:13], v[80:81], v[143:144]
	v_add3_u32 v127, 0, v56, v57
	v_add_f64 v[56:57], v[149:150], v[129:130]
	s_mov_b32 s24, 0xe8584caa
	v_fma_f64 v[8:9], v[66:67], v[125:126], v[82:83]
	v_fma_f64 v[16:17], v[68:69], v[125:126], -v[6:7]
	ds_read_b128 v[66:69], v124
	v_mul_f64 v[6:7], v[90:91], v[135:136]
	v_mul_f64 v[82:83], v[78:79], v[143:144]
	v_fma_f64 v[10:11], v[90:91], v[133:134], v[10:11]
	s_mov_b32 s25, 0xbfebb67a
	s_waitcnt lgkmcnt(0)
	v_add_f64 v[90:91], v[68:69], v[147:148]
	s_mov_b32 s26, s24
	v_add_f64 v[125:126], v[151:152], -v[131:132]
	v_lshlrev_b32_sdwa v54, v73, v54 dst_sel:DWORD dst_unused:UNUSED_PAD src0_sel:DWORD src1_sel:BYTE_0
	v_fma_f64 v[14:15], v[92:93], v[133:134], -v[6:7]
	v_add_f64 v[92:93], v[66:67], v[122:123]
	v_fma_f64 v[6:7], v[78:79], v[141:142], v[12:13]
	v_fma_f64 v[12:13], v[80:81], v[141:142], -v[82:83]
	v_fma_f64 v[80:81], v[84:85], -0.5, v[66:67]
	v_fma_f64 v[84:85], v[88:89], -0.5, v[68:69]
	v_add_f64 v[82:83], v[147:148], -v[86:87]
	v_add_f64 v[68:69], v[90:91], v[86:87]
	v_add_f64 v[86:87], v[122:123], -v[70:71]
	v_add_f64 v[66:67], v[92:93], v[70:71]
	v_add_f64 v[70:71], v[151:152], v[131:132]
	v_fma_f64 v[78:79], v[82:83], s[24:25], v[80:81]
	v_fma_f64 v[82:83], v[82:83], s[26:27], v[80:81]
	;; [unrolled: 1-line block ×4, first 2 shown]
	ds_read_b128 v[86:89], v124 offset:1600
	ds_read_b128 v[90:93], v124 offset:3200
	;; [unrolled: 1-line block ×8, first 2 shown]
	s_waitcnt lgkmcnt(7)
	v_fma_f64 v[56:57], v[56:57], -0.5, v[86:87]
	v_add_f64 v[86:87], v[86:87], v[149:150]
	s_waitcnt lgkmcnt(0)
	s_barrier
	v_add_f64 v[122:123], v[88:89], v[151:152]
	ds_write_b128 v127, v[66:69]
	v_fma_f64 v[70:71], v[70:71], -0.5, v[88:89]
	v_add_f64 v[88:89], v[149:150], -v[129:130]
	v_add_f64 v[66:67], v[86:87], v[129:130]
	v_add_f64 v[86:87], v[118:119], v[137:138]
	ds_write_b128 v127, v[78:81] offset:160
	ds_write_b128 v127, v[82:85] offset:320
	v_fma_f64 v[78:79], v[125:126], s[24:25], v[56:57]
	v_add_f64 v[68:69], v[122:123], v[131:132]
	v_fma_f64 v[82:83], v[125:126], s[26:27], v[56:57]
	v_mul_u32_u24_e32 v57, 0x1e0, v55
	v_fma_f64 v[80:81], v[88:89], s[26:27], v[70:71]
	v_fma_f64 v[84:85], v[88:89], s[24:25], v[70:71]
	v_add_f64 v[55:56], v[120:121], v[139:140]
	v_fma_f64 v[70:71], v[86:87], -0.5, v[90:91]
	v_add_f64 v[86:87], v[92:93], v[120:121]
	v_add_f64 v[88:89], v[90:91], v[118:119]
	v_add_f64 v[90:91], v[120:121], -v[139:140]
	v_add3_u32 v54, 0, v57, v54
	ds_write_b128 v54, v[66:69]
	v_add_f64 v[118:119], v[118:119], -v[137:138]
	v_fma_f64 v[92:93], v[55:56], -0.5, v[92:93]
	ds_write_b128 v54, v[78:81] offset:160
	ds_write_b128 v54, v[82:85] offset:320
	v_add_f64 v[56:57], v[86:87], v[139:140]
	v_add_f64 v[54:55], v[88:89], v[137:138]
	v_fma_f64 v[66:67], v[90:91], s[24:25], v[70:71]
	v_fma_f64 v[78:79], v[90:91], s[26:27], v[70:71]
	v_add_f64 v[70:71], v[153:154], v[157:158]
	v_add_f64 v[82:83], v[145:146], v[155:156]
	v_add3_u32 v88, 0, v53, v52
	v_add_f64 v[52:53], v[96:97], v[153:154]
	v_add_f64 v[84:85], v[94:95], v[145:146]
	v_fma_f64 v[68:69], v[118:119], s[26:27], v[92:93]
	ds_write_b128 v88, v[54:57]
	v_fma_f64 v[80:81], v[118:119], s[24:25], v[92:93]
	v_fma_f64 v[56:57], v[70:71], -0.5, v[96:97]
	v_add_f64 v[70:71], v[145:146], -v[155:156]
	v_fma_f64 v[82:83], v[82:83], -0.5, v[94:95]
	v_add_f64 v[86:87], v[153:154], -v[157:158]
	v_add_f64 v[54:55], v[52:53], v[157:158]
	v_add_f64 v[52:53], v[84:85], v[155:156]
	;; [unrolled: 1-line block ×3, first 2 shown]
	ds_write_b128 v88, v[66:69] offset:160
	ds_write_b128 v88, v[78:81] offset:320
	v_add3_u32 v90, 0, v51, v50
	v_fma_f64 v[68:69], v[70:71], s[26:27], v[56:57]
	v_fma_f64 v[80:81], v[70:71], s[24:25], v[56:57]
	v_add_f64 v[56:57], v[161:162], v[165:166]
	v_fma_f64 v[66:67], v[86:87], s[24:25], v[82:83]
	v_fma_f64 v[78:79], v[86:87], s[26:27], v[82:83]
	v_fma_f64 v[70:71], v[84:85], -0.5, v[98:99]
	v_add_f64 v[84:85], v[161:162], -v[165:166]
	v_add_f64 v[50:51], v[100:101], v[161:162]
	v_add_f64 v[82:83], v[98:99], v[159:160]
	v_add_f64 v[88:89], v[159:160], -v[163:164]
	v_fma_f64 v[86:87], v[56:57], -0.5, v[100:101]
	ds_write_b128 v90, v[52:55]
	ds_write_b128 v90, v[66:69] offset:160
	ds_write_b128 v90, v[78:81] offset:320
	v_add_f64 v[78:79], v[36:37], v[38:39]
	v_fma_f64 v[54:55], v[84:85], s[24:25], v[70:71]
	v_fma_f64 v[66:67], v[84:85], s[26:27], v[70:71]
	v_add_f64 v[70:71], v[42:43], v[40:41]
	v_add_f64 v[52:53], v[50:51], v[165:166]
	;; [unrolled: 1-line block ×3, first 2 shown]
	v_fma_f64 v[56:57], v[88:89], s[26:27], v[86:87]
	v_fma_f64 v[68:69], v[88:89], s[24:25], v[86:87]
	v_add3_u32 v82, 0, v49, v48
	v_fma_f64 v[78:79], v[78:79], -0.5, v[102:103]
	v_add_f64 v[48:49], v[104:105], v[42:43]
	v_add_f64 v[80:81], v[102:103], v[36:37]
	v_add_f64 v[42:43], v[42:43], -v[40:41]
	v_fma_f64 v[70:71], v[70:71], -0.5, v[104:105]
	v_add_f64 v[36:37], v[36:37], -v[38:39]
	ds_write_b128 v82, v[50:53]
	ds_write_b128 v82, v[54:57] offset:160
	ds_write_b128 v82, v[66:69] offset:320
	v_add_f64 v[56:57], v[30:31], v[28:29]
	v_add_f64 v[40:41], v[48:49], v[40:41]
	;; [unrolled: 1-line block ×3, first 2 shown]
	v_fma_f64 v[48:49], v[42:43], s[24:25], v[78:79]
	v_fma_f64 v[52:53], v[42:43], s[26:27], v[78:79]
	;; [unrolled: 1-line block ×4, first 2 shown]
	v_mul_u32_u24_e32 v42, 0x1e0, v46
	v_add_f64 v[36:37], v[34:35], v[32:33]
	v_lshlrev_b32_e32 v43, 4, v47
	v_add_f64 v[46:47], v[108:109], v[34:35]
	v_add3_u32 v66, 0, v42, v43
	v_fma_f64 v[42:43], v[56:57], -0.5, v[106:107]
	v_add_f64 v[34:35], v[34:35], -v[32:33]
	v_add_f64 v[56:57], v[106:107], v[30:31]
	ds_write_b128 v66, v[38:41]
	v_fma_f64 v[38:39], v[36:37], -0.5, v[108:109]
	v_add_f64 v[40:41], v[30:31], -v[28:29]
	v_add_f64 v[30:31], v[46:47], v[32:33]
	v_add_f64 v[46:47], v[22:23], v[20:21]
	ds_write_b128 v66, v[48:51] offset:160
	ds_write_b128 v66, v[52:55] offset:320
	v_fma_f64 v[32:33], v[34:35], s[24:25], v[42:43]
	v_fma_f64 v[36:37], v[34:35], s[26:27], v[42:43]
	v_mul_u32_u24_e32 v42, 0x1e0, v64
	v_lshlrev_b32_e32 v43, 4, v65
	v_fma_f64 v[34:35], v[40:41], s[26:27], v[38:39]
	v_fma_f64 v[38:39], v[40:41], s[24:25], v[38:39]
	v_add_f64 v[40:41], v[26:27], v[24:25]
	v_add3_u32 v52, 0, v42, v43
	v_fma_f64 v[42:43], v[46:47], -0.5, v[110:111]
	v_add_f64 v[46:47], v[112:113], v[26:27]
	v_add_f64 v[48:49], v[110:111], v[22:23]
	;; [unrolled: 1-line block ×3, first 2 shown]
	v_add_f64 v[26:27], v[26:27], -v[24:25]
	v_add_f64 v[50:51], v[22:23], -v[20:21]
	v_fma_f64 v[40:41], v[40:41], -0.5, v[112:113]
	ds_write_b128 v52, v[28:31]
	ds_write_b128 v52, v[32:35] offset:160
	ds_write_b128 v52, v[36:39] offset:320
	v_add_f64 v[22:23], v[46:47], v[24:25]
	v_add_f64 v[20:21], v[48:49], v[20:21]
	v_mul_u32_u24_e32 v34, 0x1e0, v63
	v_lshlrev_b32_e32 v35, 4, v62
	v_add3_u32 v36, 0, v34, v35
	v_fma_f64 v[24:25], v[26:27], s[24:25], v[42:43]
	v_fma_f64 v[28:29], v[26:27], s[26:27], v[42:43]
	v_fma_f64 v[26:27], v[50:51], s[26:27], v[40:41]
	v_add_f64 v[32:33], v[4:5], v[8:9]
	ds_write_b128 v36, v[20:23]
	v_add_f64 v[22:23], v[116:117], v[18:19]
	v_add_f64 v[20:21], v[18:19], v[16:17]
	v_fma_f64 v[30:31], v[50:51], s[24:25], v[40:41]
	v_add_f64 v[34:35], v[10:11], v[6:7]
	ds_write_b128 v36, v[24:27] offset:160
	v_add_f64 v[24:25], v[114:115], v[4:5]
	v_fma_f64 v[26:27], v[32:33], -0.5, v[114:115]
	v_add_f64 v[32:33], v[18:19], -v[16:17]
	v_add_f64 v[18:19], v[22:23], v[16:17]
	v_add_f64 v[22:23], v[14:15], v[12:13]
	v_fma_f64 v[20:21], v[20:21], -0.5, v[116:117]
	v_add_f64 v[4:5], v[4:5], -v[8:9]
	ds_write_b128 v36, v[28:31] offset:320
	v_add_f64 v[28:29], v[2:3], v[14:15]
	v_add_f64 v[30:31], v[0:1], v[10:11]
	;; [unrolled: 1-line block ×3, first 2 shown]
	v_fma_f64 v[24:25], v[34:35], -0.5, v[0:1]
	v_add_f64 v[34:35], v[14:15], -v[12:13]
	v_fma_f64 v[22:23], v[22:23], -0.5, v[2:3]
	v_add_f64 v[36:37], v[10:11], -v[6:7]
	v_fma_f64 v[8:9], v[32:33], s[24:25], v[26:27]
	v_fma_f64 v[10:11], v[4:5], s[26:27], v[20:21]
	;; [unrolled: 1-line block ×4, first 2 shown]
	v_add_f64 v[14:15], v[28:29], v[12:13]
	v_add_f64 v[12:13], v[30:31], v[6:7]
	v_fma_f64 v[4:5], v[34:35], s[24:25], v[24:25]
	v_fma_f64 v[6:7], v[36:37], s[26:27], v[22:23]
	;; [unrolled: 1-line block ×4, first 2 shown]
	v_mul_u32_u24_e32 v24, 0x1e0, v60
	v_lshlrev_b32_e32 v25, 4, v61
	v_add3_u32 v24, 0, v24, v25
	ds_write_b128 v24, v[16:19]
	ds_write_b128 v24, v[8:11] offset:160
	ds_write_b128 v24, v[0:3] offset:320
	v_mul_u32_u24_e32 v0, 0x1e0, v58
	v_lshlrev_b32_e32 v1, 4, v59
	v_add3_u32 v0, 0, v0, v1
	s_movk_i32 s24, 0x89
	ds_write_b128 v0, v[12:15]
	ds_write_b128 v0, v[4:7] offset:160
	ds_write_b128 v0, v[20:23] offset:320
	v_mul_lo_u16_sdwa v0, v72, s24 dst_sel:DWORD dst_unused:UNUSED_PAD src0_sel:BYTE_0 src1_sel:DWORD
	v_lshrrev_b16_e32 v102, 12, v0
	v_mul_lo_u16_e32 v0, 30, v102
	v_sub_u16_e32 v103, v72, v0
	v_mov_b32_e32 v8, 9
	v_mul_u32_u24_sdwa v0, v103, v8 dst_sel:DWORD dst_unused:UNUSED_PAD src0_sel:BYTE_0 src1_sel:DWORD
	v_lshlrev_b32_e32 v9, 4, v0
	s_waitcnt lgkmcnt(0)
	s_barrier
	global_load_dwordx4 v[0:3], v9, s[12:13] offset:320
	global_load_dwordx4 v[4:7], v9, s[12:13] offset:336
	;; [unrolled: 1-line block ×9, first 2 shown]
	v_mul_lo_u16_sdwa v10, v45, s24 dst_sel:DWORD dst_unused:UNUSED_PAD src0_sel:BYTE_0 src1_sel:DWORD
	v_lshrrev_b16_e32 v98, 12, v10
	v_mul_lo_u16_e32 v10, 30, v98
	v_sub_u16_e32 v99, v45, v10
	v_mul_u32_u24_sdwa v8, v99, v8 dst_sel:DWORD dst_unused:UNUSED_PAD src0_sel:BYTE_0 src1_sel:DWORD
	v_lshlrev_b32_e32 v63, 4, v8
	global_load_dwordx4 v[40:43], v63, s[12:13] offset:320
	global_load_dwordx4 v[45:48], v63, s[12:13] offset:336
	ds_read_b128 v[8:11], v124 offset:4800
	ds_read_b128 v[49:52], v124 offset:9600
	;; [unrolled: 1-line block ×4, first 2 shown]
	global_load_dwordx4 v[64:67], v63, s[12:13] offset:352
	global_load_dwordx4 v[68:71], v63, s[12:13] offset:368
	;; [unrolled: 1-line block ×3, first 2 shown]
	ds_read_b128 v[78:81], v124 offset:19200
	s_mov_b32 s24, 0x8889
	v_mul_u32_u24_e32 v102, 0x12c0, v102
	v_lshlrev_b32_sdwa v103, v73, v103 dst_sel:DWORD dst_unused:UNUSED_PAD src0_sel:DWORD src1_sel:BYTE_0
	v_lshlrev_b32_sdwa v73, v73, v99 dst_sel:DWORD dst_unused:UNUSED_PAD src0_sel:DWORD src1_sel:BYTE_0
	s_waitcnt vmcnt(13) lgkmcnt(4)
	v_mul_f64 v[57:58], v[10:11], v[2:3]
	v_mul_f64 v[2:3], v[8:9], v[2:3]
	s_waitcnt vmcnt(12) lgkmcnt(3)
	v_mul_f64 v[61:62], v[51:52], v[6:7]
	v_fma_f64 v[8:9], v[8:9], v[0:1], v[57:58]
	ds_read_b128 v[57:60], v124 offset:14400
	global_load_dwordx4 v[90:93], v63, s[12:13] offset:400
	global_load_dwordx4 v[94:97], v63, s[12:13] offset:416
	v_fma_f64 v[10:11], v[10:11], v[0:1], -v[2:3]
	v_fma_f64 v[2:3], v[49:50], v[4:5], v[61:62]
	v_mul_f64 v[0:1], v[49:50], v[6:7]
	v_mul_u32_u24_sdwa v49, v44, s24 dst_sel:DWORD dst_unused:UNUSED_PAD src0_sel:WORD_0 src1_sel:DWORD
	s_waitcnt vmcnt(13) lgkmcnt(0)
	v_mul_f64 v[6:7], v[59:60], v[14:15]
	v_mul_f64 v[14:15], v[57:58], v[14:15]
	s_waitcnt vmcnt(12)
	v_mul_f64 v[61:62], v[80:81], v[18:19]
	v_mul_f64 v[18:19], v[78:79], v[18:19]
	v_lshrrev_b32_e32 v100, 20, v49
	ds_read_b128 v[86:89], v124 offset:16000
	ds_read_b128 v[108:111], v124 offset:17600
	;; [unrolled: 1-line block ×3, first 2 shown]
	global_load_dwordx4 v[116:119], v63, s[12:13] offset:432
	global_load_dwordx4 v[120:123], v63, s[12:13] offset:448
	v_mul_lo_u16_e32 v49, 30, v100
	v_sub_u16_e32 v101, v44, v49
	v_mul_u32_u24_e32 v44, 9, v101
	v_lshlrev_b32_e32 v44, 4, v44
	global_load_dwordx4 v[129:132], v44, s[12:13] offset:320
	v_fma_f64 v[163:164], v[57:58], v[12:13], v[6:7]
	v_fma_f64 v[165:166], v[59:60], v[12:13], -v[14:15]
	global_load_dwordx4 v[12:15], v44, s[12:13] offset:336
	v_fma_f64 v[167:168], v[78:79], v[16:17], v[61:62]
	v_fma_f64 v[169:170], v[80:81], v[16:17], -v[18:19]
	global_load_dwordx4 v[16:19], v44, s[12:13] offset:352
	ds_read_b128 v[125:128], v124 offset:24000
	v_fma_f64 v[161:162], v[51:52], v[4:5], -v[0:1]
	ds_read_b128 v[4:7], v124 offset:25600
	ds_read_b128 v[49:52], v124 offset:27200
	s_waitcnt vmcnt(15) lgkmcnt(3)
	v_mul_f64 v[141:142], v[114:115], v[26:27]
	v_mul_f64 v[26:27], v[112:113], v[26:27]
	global_load_dwordx4 v[133:136], v44, s[12:13] offset:368
	global_load_dwordx4 v[137:140], v44, s[12:13] offset:384
	;; [unrolled: 1-line block ×4, first 2 shown]
	s_waitcnt lgkmcnt(2)
	v_mul_f64 v[0:1], v[127:128], v[22:23]
	v_mul_f64 v[22:23], v[125:126], v[22:23]
	ds_read_b128 v[57:60], v124 offset:33600
	v_fma_f64 v[175:176], v[112:113], v[24:25], v[141:142]
	v_fma_f64 v[177:178], v[114:115], v[24:25], -v[26:27]
	global_load_dwordx4 v[112:115], v44, s[12:13] offset:400
	global_load_dwordx4 v[141:144], v44, s[12:13] offset:416
	ds_read_b128 v[24:27], v124 offset:43200
	ds_read_b128 v[149:152], v124 offset:44800
	v_fma_f64 v[171:172], v[125:126], v[20:21], v[0:1]
	v_fma_f64 v[173:174], v[127:128], v[20:21], -v[22:23]
	ds_read_b128 v[20:23], v124 offset:35200
	s_waitcnt vmcnt(20) lgkmcnt(3)
	v_mul_f64 v[0:1], v[59:60], v[30:31]
	v_mul_f64 v[30:31], v[57:58], v[30:31]
	ds_read_b128 v[78:81], v124 offset:38400
	ds_read_b128 v[125:128], v124 offset:36800
	;; [unrolled: 1-line block ×3, first 2 shown]
	s_waitcnt vmcnt(19) lgkmcnt(2)
	v_mul_f64 v[61:62], v[80:81], v[34:35]
	v_fma_f64 v[179:180], v[57:58], v[28:29], v[0:1]
	s_waitcnt vmcnt(18)
	v_mul_f64 v[0:1], v[26:27], v[38:39]
	v_mul_f64 v[38:39], v[24:25], v[38:39]
	v_fma_f64 v[181:182], v[59:60], v[28:29], -v[30:31]
	ds_read_b128 v[28:31], v124 offset:11200
	v_mul_f64 v[34:35], v[78:79], v[34:35]
	s_waitcnt vmcnt(17)
	v_mul_f64 v[57:58], v[55:56], v[42:43]
	v_mul_f64 v[42:43], v[53:54], v[42:43]
	v_fma_f64 v[183:184], v[78:79], v[32:33], v[61:62]
	v_fma_f64 v[187:188], v[24:25], v[36:37], v[0:1]
	v_fma_f64 v[189:190], v[26:27], v[36:37], -v[38:39]
	ds_read_b128 v[24:27], v124 offset:12800
	s_waitcnt vmcnt(16) lgkmcnt(1)
	v_mul_f64 v[0:1], v[30:31], v[47:48]
	v_mul_f64 v[36:37], v[28:29], v[47:48]
	s_waitcnt vmcnt(15)
	v_mul_f64 v[47:48], v[88:89], v[66:67]
	v_fma_f64 v[185:186], v[80:81], v[32:33], -v[34:35]
	v_fma_f64 v[62:63], v[53:54], v[40:41], v[57:58]
	ds_read_b128 v[32:35], v124 offset:20800
	v_fma_f64 v[78:79], v[55:56], v[40:41], -v[42:43]
	ds_read_b128 v[38:41], v124 offset:22400
	v_mul_f64 v[53:54], v[86:87], v[66:67]
	v_fma_f64 v[58:59], v[28:29], v[45:46], v[0:1]
	v_fma_f64 v[56:57], v[30:31], v[45:46], -v[36:37]
	ds_read_b128 v[28:31], v124 offset:30400
	ds_read_b128 v[42:45], v124 offset:32000
	s_waitcnt vmcnt(13)
	v_mul_f64 v[36:37], v[6:7], v[84:85]
	v_mul_f64 v[66:67], v[4:5], v[84:85]
	s_waitcnt lgkmcnt(3)
	v_mul_f64 v[60:61], v[34:35], v[70:71]
	v_mul_f64 v[0:1], v[32:33], v[70:71]
	v_fma_f64 v[70:71], v[86:87], v[64:65], v[47:48]
	s_waitcnt vmcnt(12) lgkmcnt(1)
	v_mul_f64 v[46:47], v[28:29], v[92:93]
	v_fma_f64 v[86:87], v[88:89], v[64:65], -v[53:54]
	v_mul_f64 v[84:85], v[30:31], v[92:93]
	v_fma_f64 v[80:81], v[4:5], v[82:83], v[36:37]
	v_fma_f64 v[88:89], v[6:7], v[82:83], -v[66:67]
	ds_read_b128 v[4:7], v124 offset:40000
	v_fma_f64 v[64:65], v[32:33], v[68:69], v[60:61]
	v_fma_f64 v[60:61], v[34:35], v[68:69], -v[0:1]
	v_fma_f64 v[68:69], v[30:31], v[90:91], -v[46:47]
	s_waitcnt vmcnt(11)
	v_mul_f64 v[0:1], v[22:23], v[96:97]
	s_waitcnt vmcnt(10) lgkmcnt(0)
	v_mul_f64 v[30:31], v[6:7], v[118:119]
	v_mul_f64 v[32:33], v[4:5], v[118:119]
	v_fma_f64 v[66:67], v[28:29], v[90:91], v[84:85]
	v_mul_f64 v[28:29], v[20:21], v[96:97]
	s_waitcnt vmcnt(9)
	v_mul_f64 v[34:35], v[151:152], v[122:123]
	s_waitcnt vmcnt(8)
	v_mul_f64 v[46:47], v[106:107], v[131:132]
	v_mul_f64 v[53:54], v[104:105], v[131:132]
	;; [unrolled: 1-line block ×3, first 2 shown]
	v_fma_f64 v[84:85], v[4:5], v[116:117], v[30:31]
	v_fma_f64 v[82:83], v[6:7], v[116:117], -v[32:33]
	s_waitcnt vmcnt(7)
	v_mul_f64 v[4:5], v[24:25], v[14:15]
	s_waitcnt vmcnt(6)
	v_mul_f64 v[6:7], v[110:111], v[18:19]
	v_fma_f64 v[90:91], v[20:21], v[94:95], v[0:1]
	v_fma_f64 v[94:95], v[22:23], v[94:95], -v[28:29]
	v_fma_f64 v[92:93], v[149:150], v[120:121], v[34:35]
	v_fma_f64 v[28:29], v[104:105], v[129:130], v[46:47]
	v_fma_f64 v[34:35], v[106:107], v[129:130], -v[53:54]
	v_mul_f64 v[0:1], v[26:27], v[14:15]
	v_mul_f64 v[14:15], v[108:109], v[18:19]
	s_waitcnt vmcnt(5)
	v_mul_f64 v[18:19], v[40:41], v[135:136]
	v_mul_f64 v[32:33], v[38:39], v[135:136]
	s_waitcnt vmcnt(4)
	v_mul_f64 v[46:47], v[51:52], v[139:140]
	v_mul_f64 v[53:54], v[49:50], v[139:140]
	v_fma_f64 v[20:21], v[26:27], v[12:13], -v[4:5]
	v_fma_f64 v[30:31], v[108:109], v[16:17], v[6:7]
	ds_read_b128 v[4:7], v124 offset:46400
	v_fma_f64 v[96:97], v[151:152], v[120:121], -v[36:37]
	v_fma_f64 v[22:23], v[24:25], v[12:13], v[0:1]
	v_fma_f64 v[36:37], v[110:111], v[16:17], -v[14:15]
	ds_read_b128 v[12:15], v124
	v_fma_f64 v[26:27], v[38:39], v[133:134], v[18:19]
	v_fma_f64 v[24:25], v[40:41], v[133:134], -v[32:33]
	v_fma_f64 v[32:33], v[49:50], v[137:138], v[46:47]
	v_fma_f64 v[38:39], v[51:52], v[137:138], -v[53:54]
	s_waitcnt vmcnt(1)
	v_mul_f64 v[0:1], v[44:45], v[114:115]
	v_mul_f64 v[16:17], v[42:43], v[114:115]
	s_waitcnt vmcnt(0)
	v_mul_f64 v[18:19], v[127:128], v[143:144]
	v_mul_f64 v[46:47], v[125:126], v[143:144]
	;; [unrolled: 1-line block ×3, first 2 shown]
	s_waitcnt lgkmcnt(1)
	v_mul_f64 v[104:105], v[6:7], v[155:156]
	v_mul_f64 v[54:55], v[157:158], v[147:148]
	v_add_f64 v[106:107], v[10:11], v[165:166]
	v_fma_f64 v[42:43], v[42:43], v[112:113], v[0:1]
	v_fma_f64 v[40:41], v[44:45], v[112:113], -v[16:17]
	v_fma_f64 v[48:49], v[125:126], v[141:142], v[18:19]
	v_mul_f64 v[0:1], v[4:5], v[155:156]
	v_fma_f64 v[52:53], v[127:128], v[141:142], -v[46:47]
	v_fma_f64 v[46:47], v[157:158], v[145:146], v[50:51]
	v_fma_f64 v[50:51], v[4:5], v[153:154], v[104:105]
	v_add_f64 v[4:5], v[167:168], v[175:176]
	s_waitcnt lgkmcnt(0)
	v_add_f64 v[16:17], v[12:13], v[2:3]
	v_add_f64 v[18:19], v[2:3], v[183:184]
	v_fma_f64 v[44:45], v[159:160], v[145:146], -v[54:55]
	v_fma_f64 v[54:55], v[6:7], v[153:154], -v[0:1]
	v_add_f64 v[0:1], v[169:170], v[177:178]
	v_add_f64 v[6:7], v[14:15], v[161:162]
	v_add_f64 v[104:105], v[8:9], v[163:164]
	v_fma_f64 v[108:109], v[4:5], -0.5, v[12:13]
	v_add_f64 v[4:5], v[16:17], v[167:168]
	v_fma_f64 v[16:17], v[18:19], -0.5, v[12:13]
	v_add_f64 v[12:13], v[173:174], v[181:182]
	v_add_f64 v[114:115], v[163:164], -v[187:188]
	v_fma_f64 v[18:19], v[0:1], -0.5, v[14:15]
	v_add_f64 v[0:1], v[6:7], v[169:170]
	v_add_f64 v[6:7], v[104:105], v[171:172]
	;; [unrolled: 1-line block ×5, first 2 shown]
	v_fma_f64 v[112:113], v[12:13], -0.5, v[10:11]
	v_add_f64 v[116:117], v[189:190], -v[181:182]
	v_add_f64 v[122:123], v[171:172], -v[179:180]
	v_add_f64 v[106:107], v[161:162], v[185:186]
	v_add_f64 v[6:7], v[6:7], v[179:180]
	;; [unrolled: 1-line block ×3, first 2 shown]
	v_add_f64 v[104:105], v[165:166], -v[173:174]
	v_add_f64 v[0:1], v[0:1], v[177:178]
	v_fma_f64 v[120:121], v[114:115], s[4:5], v[112:113]
	v_fma_f64 v[110:111], v[110:111], -0.5, v[8:9]
	v_add_f64 v[118:119], v[165:166], -v[189:190]
	v_add_f64 v[125:126], v[4:5], v[183:184]
	v_add_f64 v[127:128], v[6:7], v[187:188]
	v_add_f64 v[6:7], v[163:164], -v[171:172]
	v_add_f64 v[116:117], v[104:105], v[116:117]
	v_add_f64 v[129:130], v[187:188], -v[179:180]
	v_fma_f64 v[120:121], v[122:123], s[6:7], v[120:121]
	v_add_f64 v[131:132], v[173:174], -v[181:182]
	v_fma_f64 v[104:105], v[118:119], s[14:15], v[110:111]
	v_fma_f64 v[133:134], v[106:107], -0.5, v[14:15]
	v_add_f64 v[14:15], v[0:1], v[185:186]
	v_add_f64 v[4:5], v[125:126], v[127:128]
	v_add_f64 v[106:107], v[2:3], -v[167:168]
	v_add_f64 v[135:136], v[183:184], -v[175:176]
	v_fma_f64 v[120:121], v[116:117], s[16:17], v[120:121]
	v_add_f64 v[0:1], v[125:126], -v[127:128]
	v_add_f64 v[125:126], v[165:166], v[189:190]
	v_add_f64 v[129:130], v[6:7], v[129:130]
	v_fma_f64 v[104:105], v[131:132], s[8:9], v[104:105]
	v_add_f64 v[141:142], v[161:162], -v[185:186]
	v_add_f64 v[137:138], v[161:162], -v[169:170]
	v_add_f64 v[135:136], v[106:107], v[135:136]
	v_mul_f64 v[127:128], v[120:121], s[8:9]
	v_mul_f64 v[106:107], v[120:121], s[22:23]
	v_add_f64 v[120:121], v[163:164], v[187:188]
	v_fma_f64 v[125:126], v[125:126], -0.5, v[10:11]
	v_add_f64 v[139:140], v[185:186], -v[177:178]
	v_fma_f64 v[104:105], v[129:130], s[16:17], v[104:105]
	v_fma_f64 v[10:11], v[141:142], s[14:15], v[108:109]
	v_add_f64 v[143:144], v[169:170], -v[177:178]
	v_add_f64 v[145:146], v[173:174], -v[165:166]
	;; [unrolled: 1-line block ×3, first 2 shown]
	v_fma_f64 v[120:121], v[120:121], -0.5, v[8:9]
	v_fma_f64 v[8:9], v[122:123], s[14:15], v[125:126]
	v_fma_f64 v[125:126], v[122:123], s[4:5], v[125:126]
	;; [unrolled: 1-line block ×3, first 2 shown]
	v_add_f64 v[137:138], v[137:138], v[139:140]
	v_add_f64 v[139:140], v[2:3], -v[183:184]
	v_fma_f64 v[127:128], v[104:105], s[22:23], v[127:128]
	v_add_f64 v[151:152], v[167:168], -v[175:176]
	v_fma_f64 v[104:105], v[104:105], s[6:7], v[106:107]
	v_add_f64 v[106:107], v[171:172], -v[163:164]
	v_add_f64 v[153:154], v[179:180], -v[187:188]
	v_add_f64 v[145:146], v[145:146], v[147:148]
	v_fma_f64 v[147:148], v[131:132], s[4:5], v[120:121]
	v_fma_f64 v[8:9], v[114:115], s[6:7], v[8:9]
	;; [unrolled: 1-line block ×8, first 2 shown]
	v_add_f64 v[2:3], v[167:168], -v[2:3]
	v_add_f64 v[155:156], v[175:176], -v[183:184]
	;; [unrolled: 1-line block ×3, first 2 shown]
	v_add_f64 v[153:154], v[106:107], v[153:154]
	v_fma_f64 v[106:107], v[118:119], s[8:9], v[147:148]
	v_fma_f64 v[8:9], v[145:146], s[16:17], v[8:9]
	v_add_f64 v[147:148], v[177:178], -v[185:186]
	v_fma_f64 v[159:160], v[135:136], s[16:17], v[10:11]
	v_fma_f64 v[10:11], v[143:144], s[4:5], v[16:17]
	;; [unrolled: 1-line block ×12, first 2 shown]
	v_add_f64 v[155:156], v[2:3], v[155:156]
	v_fma_f64 v[106:107], v[153:154], s[16:17], v[106:107]
	v_mul_f64 v[163:164], v[8:9], s[14:15]
	v_add_f64 v[147:148], v[157:158], v[147:148]
	v_mul_f64 v[157:158], v[8:9], s[16:17]
	v_fma_f64 v[165:166], v[141:142], s[8:9], v[10:11]
	v_fma_f64 v[161:162], v[139:140], s[6:7], v[161:162]
	;; [unrolled: 1-line block ×5, first 2 shown]
	v_mul_f64 v[120:121], v[114:115], s[14:15]
	v_mul_f64 v[114:115], v[114:115], s[20:21]
	v_add_f64 v[12:13], v[12:13], v[189:190]
	v_fma_f64 v[108:109], v[143:144], s[6:7], v[108:109]
	v_fma_f64 v[18:19], v[151:152], s[8:9], v[18:19]
	;; [unrolled: 1-line block ×3, first 2 shown]
	v_mul_f64 v[122:123], v[112:113], s[8:9]
	v_mul_f64 v[112:113], v[112:113], s[18:19]
	v_fma_f64 v[149:150], v[137:138], s[16:17], v[149:150]
	v_fma_f64 v[163:164], v[106:107], s[16:17], v[163:164]
	;; [unrolled: 1-line block ×9, first 2 shown]
	v_add_f64 v[6:7], v[14:15], v[12:13]
	v_add_f64 v[2:3], v[14:15], -v[12:13]
	v_add_f64 v[8:9], v[159:160], v[127:128]
	v_add_f64 v[12:13], v[159:160], -v[127:128]
	v_fma_f64 v[127:128], v[135:136], s[16:17], v[108:109]
	v_fma_f64 v[18:19], v[137:138], s[16:17], v[18:19]
	;; [unrolled: 1-line block ×4, first 2 shown]
	v_add_f64 v[10:11], v[149:150], v[104:105]
	v_add_f64 v[14:15], v[149:150], -v[104:105]
	v_add_f64 v[104:105], v[165:166], v[163:164]
	v_add_f64 v[106:107], v[161:162], v[157:158]
	v_add_f64 v[108:109], v[165:166], -v[163:164]
	v_add_f64 v[110:111], v[161:162], -v[157:158]
	v_add_f64 v[112:113], v[16:17], v[116:117]
	v_add_f64 v[114:115], v[125:126], v[118:119]
	v_add_f64 v[116:117], v[16:17], -v[116:117]
	v_add_f64 v[118:119], v[125:126], -v[118:119]
	v_add_f64 v[120:121], v[127:128], v[129:130]
	v_add_f64 v[122:123], v[18:19], v[131:132]
	v_add3_u32 v133, 0, v102, v103
	v_add_f64 v[16:17], v[127:128], -v[129:130]
	v_add_f64 v[18:19], v[18:19], -v[131:132]
	ds_read_b128 v[125:128], v124 offset:1600
	ds_read_b128 v[129:132], v124 offset:3200
	s_waitcnt lgkmcnt(0)
	s_barrier
	ds_write_b128 v133, v[4:7]
	ds_write_b128 v133, v[8:11] offset:480
	ds_write_b128 v133, v[104:107] offset:960
	ds_write_b128 v133, v[112:115] offset:1440
	ds_write_b128 v133, v[120:123] offset:1920
	ds_write_b128 v133, v[0:3] offset:2400
	ds_write_b128 v133, v[12:15] offset:2880
	ds_write_b128 v133, v[108:111] offset:3360
	ds_write_b128 v133, v[116:119] offset:3840
	v_add_f64 v[12:13], v[60:61], v[68:69]
	v_add_f64 v[14:15], v[56:57], v[82:83]
	;; [unrolled: 1-line block ×5, first 2 shown]
	ds_write_b128 v133, v[16:19] offset:4320
	v_add_f64 v[133:134], v[84:85], -v[66:67]
	v_add_f64 v[139:140], v[86:87], v[96:97]
	v_fma_f64 v[108:109], v[12:13], -0.5, v[127:128]
	v_fma_f64 v[18:19], v[14:15], -0.5, v[127:128]
	v_add_f64 v[127:128], v[58:59], -v[64:65]
	v_add_f64 v[6:7], v[62:63], v[70:71]
	v_add_f64 v[2:3], v[10:11], v[88:89]
	;; [unrolled: 1-line block ×3, first 2 shown]
	v_fma_f64 v[102:103], v[102:103], -0.5, v[78:79]
	v_add_f64 v[118:119], v[80:81], -v[90:91]
	v_fma_f64 v[78:79], v[139:140], -0.5, v[78:79]
	v_add_f64 v[4:5], v[125:126], v[58:59]
	v_add_f64 v[127:128], v[127:128], v[133:134]
	;; [unrolled: 1-line block ×6, first 2 shown]
	v_add_f64 v[110:111], v[70:71], -v[92:93]
	v_fma_f64 v[104:105], v[104:105], -0.5, v[62:63]
	v_add_f64 v[112:113], v[86:87], -v[96:97]
	v_add_f64 v[14:15], v[86:87], -v[88:89]
	v_add_f64 v[114:115], v[96:97], -v[94:95]
	v_add_f64 v[122:123], v[88:89], -v[94:95]
	v_add_f64 v[86:87], v[88:89], -v[86:87]
	v_fma_f64 v[62:63], v[133:134], -0.5, v[62:63]
	v_add_f64 v[88:89], v[94:95], -v[96:97]
	v_fma_f64 v[94:95], v[118:119], s[14:15], v[78:79]
	v_add_f64 v[4:5], v[4:5], v[64:65]
	v_add_f64 v[6:7], v[6:7], v[90:91]
	v_fma_f64 v[16:17], v[10:11], -0.5, v[125:126]
	v_add_f64 v[10:11], v[70:71], -v[80:81]
	v_add_f64 v[12:13], v[92:93], -v[90:91]
	;; [unrolled: 1-line block ×4, first 2 shown]
	v_fma_f64 v[90:91], v[122:123], s[4:5], v[62:63]
	v_add_f64 v[86:87], v[86:87], v[88:89]
	v_fma_f64 v[88:89], v[110:111], s[6:7], v[94:95]
	v_add_f64 v[0:1], v[8:9], v[60:61]
	v_add_f64 v[4:5], v[4:5], v[66:67]
	v_add_f64 v[8:9], v[64:65], v[66:67]
	v_fma_f64 v[116:117], v[110:111], s[4:5], v[102:103]
	v_fma_f64 v[120:121], v[112:113], s[14:15], v[104:105]
	v_add_f64 v[137:138], v[58:59], -v[84:85]
	v_add_f64 v[141:142], v[60:61], -v[68:69]
	;; [unrolled: 1-line block ×3, first 2 shown]
	v_add_f64 v[70:71], v[70:71], v[80:81]
	v_fma_f64 v[80:81], v[112:113], s[8:9], v[90:91]
	v_add_f64 v[58:59], v[64:65], -v[58:59]
	v_fma_f64 v[64:65], v[86:87], s[16:17], v[88:89]
	v_add_f64 v[0:1], v[0:1], v[68:69]
	v_add_f64 v[4:5], v[4:5], v[84:85]
	;; [unrolled: 1-line block ×3, first 2 shown]
	v_fma_f64 v[14:15], v[118:119], s[6:7], v[116:117]
	v_add_f64 v[116:117], v[10:11], v[12:13]
	v_fma_f64 v[10:11], v[122:123], s[8:9], v[120:121]
	v_add_f64 v[120:121], v[56:57], -v[82:83]
	v_add_f64 v[12:13], v[56:57], -v[60:61]
	;; [unrolled: 1-line block ×6, first 2 shown]
	v_fma_f64 v[68:69], v[141:142], s[4:5], v[16:17]
	v_fma_f64 v[80:81], v[70:71], s[16:17], v[80:81]
	;; [unrolled: 1-line block ×3, first 2 shown]
	v_mul_f64 v[84:85], v[64:65], s[14:15]
	v_mul_f64 v[64:65], v[64:65], s[16:17]
	v_add_f64 v[6:7], v[6:7], v[92:93]
	v_fma_f64 v[106:107], v[8:9], -0.5, v[125:126]
	v_add_f64 v[56:57], v[56:57], v[60:61]
	v_fma_f64 v[60:61], v[120:121], s[8:9], v[68:69]
	v_add_f64 v[8:9], v[0:1], v[82:83]
	v_fma_f64 v[68:69], v[110:111], s[8:9], v[78:79]
	v_fma_f64 v[78:79], v[80:81], s[16:17], v[84:85]
	;; [unrolled: 1-line block ×6, first 2 shown]
	v_add_f64 v[0:1], v[4:5], v[6:7]
	v_fma_f64 v[14:15], v[114:115], s[16:17], v[14:15]
	v_fma_f64 v[68:69], v[86:87], s[16:17], v[68:69]
	;; [unrolled: 1-line block ×3, first 2 shown]
	v_add_f64 v[4:5], v[4:5], -v[6:7]
	v_fma_f64 v[80:81], v[118:119], s[8:9], v[80:81]
	v_fma_f64 v[6:7], v[116:117], s[16:17], v[10:11]
	;; [unrolled: 1-line block ×4, first 2 shown]
	v_add_f64 v[58:59], v[58:59], v[66:67]
	v_fma_f64 v[66:67], v[137:138], s[6:7], v[82:83]
	v_fma_f64 v[82:83], v[141:142], s[14:15], v[16:17]
	;; [unrolled: 1-line block ×8, first 2 shown]
	v_mul_f64 v[147:148], v[14:15], s[8:9]
	v_add_f64 v[135:136], v[12:13], v[135:136]
	v_mul_f64 v[12:13], v[14:15], s[22:23]
	v_fma_f64 v[10:11], v[141:142], s[8:9], v[10:11]
	v_fma_f64 v[14:15], v[145:146], s[6:7], v[143:144]
	;; [unrolled: 1-line block ×5, first 2 shown]
	v_mul_f64 v[70:71], v[68:69], s[14:15]
	v_mul_f64 v[68:69], v[68:69], s[20:21]
	v_fma_f64 v[88:89], v[141:142], s[6:7], v[88:89]
	v_fma_f64 v[90:91], v[145:146], s[8:9], v[90:91]
	;; [unrolled: 1-line block ×3, first 2 shown]
	v_mul_f64 v[92:93], v[80:81], s[8:9]
	v_mul_f64 v[80:81], v[80:81], s[18:19]
	v_add_f64 v[125:126], v[2:3], v[96:97]
	v_fma_f64 v[139:140], v[6:7], s[22:23], v[147:148]
	v_fma_f64 v[96:97], v[6:7], s[6:7], v[12:13]
	;; [unrolled: 1-line block ×14, first 2 shown]
	v_add_f64 v[2:3], v[8:9], v[125:126]
	v_add_f64 v[6:7], v[8:9], -v[125:126]
	v_add_f64 v[8:9], v[12:13], v[139:140]
	v_add_f64 v[10:11], v[14:15], v[96:97]
	;; [unrolled: 1-line block ×4, first 2 shown]
	v_add_f64 v[56:57], v[60:61], -v[78:79]
	v_add_f64 v[60:61], v[82:83], v[70:71]
	v_add_f64 v[62:63], v[84:85], v[68:69]
	v_add_f64 v[58:59], v[66:67], -v[64:65]
	v_add_f64 v[64:65], v[82:83], -v[70:71]
	;; [unrolled: 1-line block ×3, first 2 shown]
	v_add_f64 v[68:69], v[88:89], v[92:93]
	v_add_f64 v[70:71], v[90:91], v[80:81]
	v_add_f64 v[12:13], v[12:13], -v[139:140]
	v_add_f64 v[14:15], v[14:15], -v[96:97]
	v_mul_u32_u24_e32 v82, 0x12c0, v98
	v_add3_u32 v73, 0, v82, v73
	ds_write_b128 v73, v[0:3]
	ds_write_b128 v73, v[8:11] offset:480
	ds_write_b128 v73, v[16:19] offset:960
	;; [unrolled: 1-line block ×8, first 2 shown]
	v_add_f64 v[0:1], v[26:27], v[42:43]
	v_add_f64 v[2:3], v[129:130], v[22:23]
	;; [unrolled: 1-line block ×7, first 2 shown]
	v_add_f64 v[78:79], v[88:89], -v[92:93]
	v_fma_f64 v[56:57], v[0:1], -0.5, v[129:130]
	v_add_f64 v[0:1], v[2:3], v[26:27]
	v_fma_f64 v[16:17], v[4:5], -0.5, v[129:130]
	v_add_f64 v[2:3], v[38:39], v[52:53]
	;; [unrolled: 2-line block ×3, first 2 shown]
	v_add_f64 v[6:7], v[10:11], v[32:33]
	v_add_f64 v[80:81], v[90:91], -v[80:81]
	v_add_f64 v[8:9], v[12:13], v[38:39]
	v_add_f64 v[0:1], v[0:1], v[42:43]
	;; [unrolled: 1-line block ×3, first 2 shown]
	v_fma_f64 v[14:15], v[2:3], -0.5, v[34:35]
	v_add_f64 v[18:19], v[30:31], -v[50:51]
	v_add_f64 v[2:3], v[4:5], v[40:41]
	v_add_f64 v[4:5], v[6:7], v[48:49]
	ds_write_b128 v73, v[78:81] offset:4320
	v_add_f64 v[6:7], v[8:9], v[52:53]
	v_add_f64 v[8:9], v[36:37], -v[38:39]
	v_add_f64 v[60:61], v[54:55], -v[52:53]
	v_fma_f64 v[62:63], v[12:13], -0.5, v[28:29]
	v_add_f64 v[64:65], v[36:37], -v[54:55]
	v_fma_f64 v[12:13], v[18:19], s[4:5], v[14:15]
	v_add_f64 v[66:67], v[32:33], -v[48:49]
	v_add_f64 v[68:69], v[0:1], v[46:47]
	v_add_f64 v[4:5], v[4:5], v[50:51]
	v_add_f64 v[70:71], v[30:31], -v[32:33]
	v_add_f64 v[78:79], v[50:51], -v[48:49]
	v_add_f64 v[60:61], v[8:9], v[60:61]
	v_fma_f64 v[8:9], v[64:65], s[14:15], v[62:63]
	v_add_f64 v[80:81], v[38:39], -v[52:53]
	v_fma_f64 v[12:13], v[66:67], s[6:7], v[12:13]
	v_add_f64 v[84:85], v[22:23], -v[26:27]
	v_add_f64 v[0:1], v[68:69], v[4:5]
	v_add_f64 v[86:87], v[20:21], -v[24:25]
	v_add_f64 v[70:71], v[70:71], v[78:79]
	v_add_f64 v[78:79], v[46:47], -v[42:43]
	v_add_f64 v[88:89], v[44:45], -v[40:41]
	;; [unrolled: 1-line block ×3, first 2 shown]
	v_add_f64 v[68:69], v[36:37], v[54:55]
	v_fma_f64 v[8:9], v[80:81], s[8:9], v[8:9]
	v_fma_f64 v[12:13], v[60:61], s[16:17], v[12:13]
	v_add_f64 v[92:93], v[20:21], -v[44:45]
	v_add_f64 v[36:37], v[38:39], -v[36:37]
	v_add_f64 v[78:79], v[84:85], v[78:79]
	v_add_f64 v[84:85], v[86:87], v[88:89]
	;; [unrolled: 1-line block ×3, first 2 shown]
	v_fma_f64 v[34:35], v[68:69], -0.5, v[34:35]
	v_fma_f64 v[8:9], v[70:71], s[16:17], v[8:9]
	v_mul_f64 v[90:91], v[12:13], s[8:9]
	v_mul_f64 v[12:13], v[12:13], s[22:23]
	v_add_f64 v[38:39], v[52:53], -v[54:55]
	v_add_f64 v[10:11], v[20:21], v[44:45]
	v_add_f64 v[68:69], v[22:23], -v[46:47]
	v_fma_f64 v[28:29], v[86:87], -0.5, v[28:29]
	v_fma_f64 v[52:53], v[66:67], s[14:15], v[34:35]
	v_add_f64 v[94:95], v[24:25], -v[40:41]
	v_fma_f64 v[88:89], v[8:9], s[22:23], v[90:91]
	v_fma_f64 v[90:91], v[92:93], s[14:15], v[56:57]
	;; [unrolled: 1-line block ×3, first 2 shown]
	v_add_f64 v[8:9], v[32:33], -v[30:31]
	v_add_f64 v[12:13], v[48:49], -v[50:51]
	v_add_f64 v[30:31], v[36:37], v[38:39]
	v_fma_f64 v[32:33], v[80:81], s[4:5], v[28:29]
	v_fma_f64 v[36:37], v[18:19], s[6:7], v[52:53]
	v_fma_f64 v[82:83], v[10:11], -0.5, v[131:132]
	v_add_f64 v[6:7], v[6:7], v[54:55]
	v_fma_f64 v[54:55], v[68:69], s[4:5], v[58:59]
	v_add_f64 v[86:87], v[26:27], -v[42:43]
	v_fma_f64 v[38:39], v[94:95], s[8:9], v[90:91]
	v_add_f64 v[22:23], v[26:27], -v[22:23]
	v_add_f64 v[26:27], v[42:43], -v[46:47]
	;; [unrolled: 1-line block ×3, first 2 shown]
	v_add_f64 v[24:25], v[8:9], v[12:13]
	v_fma_f64 v[8:9], v[64:65], s[8:9], v[32:33]
	v_fma_f64 v[12:13], v[30:31], s[16:17], v[36:37]
	v_add_f64 v[10:11], v[2:3], v[44:45]
	v_fma_f64 v[48:49], v[86:87], s[6:7], v[54:55]
	v_add_f64 v[32:33], v[40:41], -v[44:45]
	v_fma_f64 v[36:37], v[78:79], s[16:17], v[38:39]
	v_fma_f64 v[38:39], v[94:95], s[4:5], v[16:17]
	;; [unrolled: 1-line block ×3, first 2 shown]
	v_add_f64 v[22:23], v[22:23], v[26:27]
	v_fma_f64 v[26:27], v[24:25], s[16:17], v[8:9]
	v_mul_f64 v[44:45], v[12:13], s[14:15]
	v_mul_f64 v[12:13], v[12:13], s[16:17]
	v_fma_f64 v[34:35], v[66:67], s[4:5], v[34:35]
	v_fma_f64 v[42:43], v[84:85], s[16:17], v[48:49]
	v_add_f64 v[20:21], v[20:21], v[32:33]
	v_fma_f64 v[32:33], v[92:93], s[8:9], v[38:39]
	v_fma_f64 v[38:39], v[68:69], s[6:7], v[40:41]
	v_add_f64 v[8:9], v[36:37], v[88:89]
	v_fma_f64 v[40:41], v[26:27], s[16:17], v[44:45]
	v_fma_f64 v[26:27], v[26:27], s[4:5], v[12:13]
	v_add_f64 v[12:13], v[36:37], -v[88:89]
	v_fma_f64 v[36:37], v[18:19], s[14:15], v[14:15]
	v_fma_f64 v[28:29], v[80:81], s[14:15], v[28:29]
	;; [unrolled: 1-line block ×3, first 2 shown]
	v_add_f64 v[2:3], v[10:11], v[6:7]
	v_add_f64 v[6:7], v[10:11], -v[6:7]
	v_add_f64 v[10:11], v[42:43], v[96:97]
	v_add_f64 v[14:15], v[42:43], -v[96:97]
	v_fma_f64 v[42:43], v[94:95], s[14:15], v[16:17]
	v_fma_f64 v[44:45], v[64:65], s[4:5], v[62:63]
	;; [unrolled: 1-line block ×14, first 2 shown]
	v_mul_f64 v[28:29], v[30:31], s[14:15]
	v_mul_f64 v[30:31], v[30:31], s[20:21]
	v_fma_f64 v[48:49], v[86:87], s[8:9], v[48:49]
	v_fma_f64 v[42:43], v[94:95], s[6:7], v[42:43]
	;; [unrolled: 1-line block ×3, first 2 shown]
	v_mul_f64 v[50:51], v[36:37], s[8:9]
	v_mul_f64 v[36:37], v[36:37], s[18:19]
	v_fma_f64 v[38:39], v[20:21], s[16:17], v[38:39]
	v_fma_f64 v[34:35], v[22:23], s[16:17], v[34:35]
	;; [unrolled: 1-line block ×9, first 2 shown]
	v_add_f64 v[16:17], v[32:33], v[40:41]
	v_add_f64 v[18:19], v[38:39], v[26:27]
	v_add_f64 v[22:23], v[38:39], -v[26:27]
	v_add_f64 v[24:25], v[34:35], v[28:29]
	v_add_f64 v[26:27], v[46:47], v[30:31]
	v_add_f64 v[20:21], v[32:33], -v[40:41]
	v_add_f64 v[28:29], v[34:35], -v[28:29]
	v_add_f64 v[32:33], v[42:43], v[50:51]
	v_add_f64 v[34:35], v[48:49], v[44:45]
	v_mul_u32_u24_e32 v40, 0x12c0, v100
	v_lshlrev_b32_e32 v41, 4, v101
	v_add3_u32 v40, 0, v40, v41
	v_add_f64 v[30:31], v[46:47], -v[30:31]
	v_add_f64 v[36:37], v[42:43], -v[50:51]
	;; [unrolled: 1-line block ×3, first 2 shown]
	ds_write_b128 v40, v[0:3]
	ds_write_b128 v40, v[8:11] offset:480
	ds_write_b128 v40, v[16:19] offset:960
	;; [unrolled: 1-line block ×9, first 2 shown]
	v_mul_u32_u24_e32 v0, 9, v72
	v_lshlrev_b32_e32 v0, 4, v0
	v_mov_b32_e32 v1, s13
	v_add_co_u32_e32 v42, vcc, s12, v0
	v_addc_co_u32_e32 v43, vcc, 0, v1, vcc
	v_add_co_u32_e32 v32, vcc, s28, v42
	v_addc_co_u32_e32 v33, vcc, 0, v43, vcc
	s_waitcnt lgkmcnt(0)
	s_barrier
	global_load_dwordx4 v[38:41], v[32:33], off offset:544
	s_movk_i32 s12, 0x1220
	v_add_co_u32_e32 v16, vcc, s12, v42
	v_addc_co_u32_e32 v17, vcc, 0, v43, vcc
	global_load_dwordx4 v[4:7], v[16:17], off offset:16
	global_load_dwordx4 v[8:11], v[16:17], off offset:32
	;; [unrolled: 1-line block ×4, first 2 shown]
	s_movk_i32 s12, 0x1260
	v_add_co_u32_e32 v34, vcc, s12, v42
	v_addc_co_u32_e32 v35, vcc, 0, v43, vcc
	global_load_dwordx4 v[28:31], v[34:35], off offset:16
	global_load_dwordx4 v[20:23], v[34:35], off offset:32
	;; [unrolled: 1-line block ×4, first 2 shown]
	ds_read_b128 v[44:47], v124 offset:4800
	ds_read_b128 v[50:53], v124 offset:6400
	v_add_co_u32_e32 v48, vcc, s29, v42
	v_addc_co_u32_e32 v49, vcc, 0, v43, vcc
	global_load_dwordx4 v[32:35], v[48:49], off offset:2656
	s_movk_i32 s12, 0x4a60
	v_add_co_u32_e32 v66, vcc, s12, v42
	ds_read_b128 v[58:61], v124 offset:9600
	v_addc_co_u32_e32 v67, vcc, 0, v43, vcc
	global_load_dwordx4 v[54:57], v[66:67], off offset:16
	global_load_dwordx4 v[62:65], v[66:67], off offset:32
	;; [unrolled: 1-line block ×3, first 2 shown]
	ds_read_b128 v[82:85], v124 offset:14400
	global_load_dwordx4 v[78:81], v[48:49], off offset:2720
	s_movk_i32 s12, 0x4aa0
	v_add_co_u32_e32 v66, vcc, s12, v42
	v_addc_co_u32_e32 v67, vcc, 0, v43, vcc
	s_mov_b32 s12, 0x8000
	s_waitcnt vmcnt(13) lgkmcnt(3)
	v_mul_f64 v[36:37], v[46:47], v[40:41]
	v_mul_f64 v[40:41], v[44:45], v[40:41]
	s_waitcnt vmcnt(11) lgkmcnt(0)
	v_mul_f64 v[110:111], v[84:85], v[10:11]
	v_mul_f64 v[10:11], v[82:83], v[10:11]
	v_fma_f64 v[36:37], v[44:45], v[38:39], v[36:37]
	v_fma_f64 v[38:39], v[46:47], v[38:39], -v[40:41]
	ds_read_b128 v[44:47], v124 offset:8000
	v_mul_f64 v[40:41], v[60:61], v[6:7]
	v_mul_f64 v[6:7], v[58:59], v[6:7]
	ds_read_b128 v[86:89], v124 offset:16000
	ds_read_b128 v[90:93], v124 offset:19200
	ds_read_b128 v[98:101], v124 offset:17600
	global_load_dwordx4 v[94:97], v[66:67], off offset:32
	global_load_dwordx4 v[102:105], v[66:67], off offset:48
	ds_read_b128 v[106:109], v124 offset:24000
	v_fma_f64 v[159:160], v[82:83], v[8:9], v[110:111]
	s_waitcnt vmcnt(12) lgkmcnt(2)
	v_mul_f64 v[114:115], v[90:91], v[2:3]
	v_fma_f64 v[40:41], v[58:59], v[4:5], v[40:41]
	v_mul_f64 v[58:59], v[92:93], v[2:3]
	v_fma_f64 v[157:158], v[60:61], v[4:5], -v[6:7]
	ds_read_b128 v[2:5], v124 offset:25600
	global_load_dwordx4 v[110:113], v[66:67], off offset:16
	s_waitcnt vmcnt(12) lgkmcnt(1)
	v_mul_f64 v[66:67], v[108:109], v[14:15]
	v_mul_f64 v[14:15], v[106:107], v[14:15]
	v_fma_f64 v[165:166], v[92:93], v[0:1], -v[114:115]
	v_fma_f64 v[161:162], v[84:85], v[8:9], -v[10:11]
	v_fma_f64 v[163:164], v[90:91], v[0:1], v[58:59]
	v_add_co_u32_e32 v0, vcc, s12, v42
	v_addc_co_u32_e32 v1, vcc, 0, v43, vcc
	ds_read_b128 v[6:9], v124 offset:28800
	ds_read_b128 v[58:61], v124 offset:33600
	v_fma_f64 v[167:168], v[106:107], v[12:13], v[66:67]
	v_fma_f64 v[169:170], v[108:109], v[12:13], -v[14:15]
	global_load_dwordx4 v[10:13], v[0:1], off offset:672
	global_load_dwordx4 v[133:136], v[0:1], off offset:736
	s_mov_b32 s12, 0x82a0
	v_add_co_u32_e32 v14, vcc, s12, v42
	v_addc_co_u32_e32 v15, vcc, 0, v43, vcc
	global_load_dwordx4 v[82:85], v[48:49], off offset:2784
	global_load_dwordx4 v[129:132], v[14:15], off offset:48
	global_load_dwordx4 v[90:93], v[14:15], off offset:16
	global_load_dwordx4 v[125:128], v[14:15], off offset:32
	s_mov_b32 s12, 0x82e0
	s_waitcnt vmcnt(17) lgkmcnt(1)
	v_mul_f64 v[48:49], v[8:9], v[30:31]
	v_mul_f64 v[30:31], v[6:7], v[30:31]
	s_waitcnt vmcnt(16) lgkmcnt(0)
	v_mul_f64 v[66:67], v[60:61], v[22:23]
	v_mul_f64 v[14:15], v[58:59], v[22:23]
	v_add_co_u32_e32 v22, vcc, s12, v42
	v_addc_co_u32_e32 v23, vcc, 0, v43, vcc
	global_load_dwordx4 v[137:140], v[22:23], off offset:16
	ds_read_b128 v[106:109], v124 offset:27200
	ds_read_b128 v[116:119], v124 offset:35200
	;; [unrolled: 1-line block ×3, first 2 shown]
	v_fma_f64 v[171:172], v[6:7], v[28:29], v[48:49]
	v_fma_f64 v[173:174], v[8:9], v[28:29], -v[30:31]
	global_load_dwordx4 v[6:9], v[22:23], off offset:32
	global_load_dwordx4 v[28:31], v[22:23], off offset:48
	ds_read_b128 v[141:144], v124 offset:36800
	ds_read_b128 v[145:148], v124 offset:43200
	global_load_dwordx4 v[149:152], v[0:1], off offset:800
	s_waitcnt vmcnt(19) lgkmcnt(2)
	v_mul_f64 v[42:43], v[122:123], v[26:27]
	v_fma_f64 v[177:178], v[60:61], v[20:21], -v[14:15]
	v_mul_f64 v[14:15], v[120:121], v[26:27]
	s_waitcnt vmcnt(18) lgkmcnt(0)
	v_mul_f64 v[26:27], v[147:148], v[18:19]
	v_mul_f64 v[0:1], v[145:146], v[18:19]
	s_waitcnt vmcnt(17)
	v_mul_f64 v[18:19], v[52:53], v[34:35]
	v_fma_f64 v[175:176], v[58:59], v[20:21], v[66:67]
	ds_read_b128 v[20:23], v124 offset:44800
	ds_read_b128 v[153:156], v124 offset:11200
	v_mul_f64 v[34:35], v[50:51], v[34:35]
	v_fma_f64 v[179:180], v[120:121], v[24:25], v[42:43]
	v_fma_f64 v[181:182], v[122:123], v[24:25], -v[14:15]
	v_fma_f64 v[183:184], v[145:146], v[16:17], v[26:27]
	ds_read_b128 v[24:27], v124 offset:12800
	s_waitcnt vmcnt(16) lgkmcnt(1)
	v_mul_f64 v[42:43], v[155:156], v[56:57]
	v_fma_f64 v[185:186], v[147:148], v[16:17], -v[0:1]
	ds_read_b128 v[14:17], v124 offset:20800
	v_fma_f64 v[50:51], v[50:51], v[32:33], v[18:19]
	v_mul_f64 v[0:1], v[153:154], v[56:57]
	s_waitcnt vmcnt(15)
	v_mul_f64 v[18:19], v[88:89], v[64:65]
	v_fma_f64 v[60:61], v[52:53], v[32:33], -v[34:35]
	v_mul_f64 v[52:53], v[86:87], v[64:65]
	s_waitcnt vmcnt(14) lgkmcnt(0)
	v_mul_f64 v[56:57], v[16:17], v[70:71]
	s_waitcnt vmcnt(13)
	v_mul_f64 v[58:59], v[2:3], v[80:81]
	v_fma_f64 v[42:43], v[153:154], v[54:55], v[42:43]
	ds_read_b128 v[32:35], v124 offset:22400
	ds_read_b128 v[120:123], v124 offset:30400
	v_fma_f64 v[48:49], v[155:156], v[54:55], -v[0:1]
	v_mul_f64 v[0:1], v[14:15], v[70:71]
	v_fma_f64 v[54:55], v[86:87], v[62:63], v[18:19]
	v_mul_f64 v[18:19], v[4:5], v[80:81]
	v_fma_f64 v[66:67], v[88:89], v[62:63], -v[52:53]
	v_fma_f64 v[52:53], v[14:15], v[68:69], v[56:57]
	v_fma_f64 v[70:71], v[4:5], v[78:79], -v[58:59]
	s_waitcnt vmcnt(12)
	v_mul_f64 v[4:5], v[118:119], v[96:97]
	ds_read_b128 v[145:148], v124 offset:32000
	v_fma_f64 v[56:57], v[16:17], v[68:69], -v[0:1]
	v_add_f64 v[153:154], v[165:166], -v[157:158]
	s_waitcnt vmcnt(10) lgkmcnt(1)
	v_mul_f64 v[14:15], v[122:123], v[112:113]
	v_fma_f64 v[64:65], v[2:3], v[78:79], v[18:19]
	ds_read_b128 v[0:3], v124 offset:40000
	v_mul_f64 v[80:81], v[120:121], v[112:113]
	v_mul_f64 v[18:19], v[116:117], v[96:97]
	v_fma_f64 v[116:117], v[116:117], v[94:95], v[4:5]
	v_add_f64 v[155:156], v[173:174], -v[181:182]
	v_fma_f64 v[62:63], v[120:121], v[110:111], v[14:15]
	ds_read_b128 v[14:17], v124 offset:41600
	s_waitcnt lgkmcnt(1)
	v_mul_f64 v[68:69], v[2:3], v[104:105]
	v_mul_f64 v[78:79], v[0:1], v[104:105]
	v_fma_f64 v[58:59], v[122:123], v[110:111], -v[80:81]
	s_waitcnt vmcnt(9)
	v_mul_f64 v[4:5], v[46:47], v[12:13]
	v_mul_f64 v[12:13], v[44:45], v[12:13]
	v_fma_f64 v[120:121], v[118:119], v[94:95], -v[18:19]
	v_fma_f64 v[114:115], v[0:1], v[102:103], v[68:69]
	v_fma_f64 v[68:69], v[2:3], v[102:103], -v[78:79]
	s_waitcnt vmcnt(7)
	v_mul_f64 v[80:81], v[22:23], v[84:85]
	v_fma_f64 v[86:87], v[44:45], v[10:11], v[4:5]
	s_waitcnt vmcnt(5)
	v_mul_f64 v[0:1], v[26:27], v[92:93]
	v_mul_f64 v[2:3], v[24:25], v[92:93]
	v_fma_f64 v[96:97], v[46:47], v[10:11], -v[12:13]
	s_waitcnt vmcnt(4)
	v_mul_f64 v[4:5], v[100:101], v[127:128]
	v_mul_f64 v[10:11], v[98:99], v[127:128]
	;; [unrolled: 1-line block ×5, first 2 shown]
	v_fma_f64 v[118:119], v[20:21], v[82:83], v[80:81]
	v_fma_f64 v[80:81], v[24:25], v[90:91], v[0:1]
	v_fma_f64 v[78:79], v[26:27], v[90:91], -v[2:3]
	v_mul_f64 v[0:1], v[108:109], v[135:136]
	v_mul_f64 v[2:3], v[106:107], v[135:136]
	v_fma_f64 v[90:91], v[98:99], v[125:126], v[4:5]
	v_fma_f64 v[98:99], v[100:101], v[125:126], -v[10:11]
	s_waitcnt vmcnt(3)
	v_mul_f64 v[10:11], v[145:146], v[139:140]
	v_fma_f64 v[122:123], v[22:23], v[82:83], -v[84:85]
	v_fma_f64 v[84:85], v[32:33], v[129:130], v[12:13]
	v_fma_f64 v[82:83], v[34:35], v[129:130], -v[18:19]
	v_mul_f64 v[4:5], v[147:148], v[139:140]
	s_waitcnt vmcnt(2)
	v_mul_f64 v[12:13], v[143:144], v[8:9]
	v_mul_f64 v[18:19], v[141:142], v[8:9]
	v_fma_f64 v[94:95], v[106:107], v[133:134], v[0:1]
	v_fma_f64 v[100:101], v[108:109], v[133:134], -v[2:3]
	ds_read_b128 v[0:3], v124 offset:46400
	v_fma_f64 v[88:89], v[147:148], v[137:138], -v[10:11]
	ds_read_b128 v[8:11], v124
	s_waitcnt vmcnt(1) lgkmcnt(2)
	v_mul_f64 v[20:21], v[16:17], v[30:31]
	v_fma_f64 v[92:93], v[145:146], v[137:138], v[4:5]
	v_mul_f64 v[4:5], v[14:15], v[30:31]
	v_fma_f64 v[104:105], v[141:142], v[6:7], v[12:13]
	v_fma_f64 v[106:107], v[143:144], v[6:7], -v[18:19]
	s_waitcnt vmcnt(0) lgkmcnt(1)
	v_mul_f64 v[6:7], v[0:1], v[151:152]
	s_waitcnt lgkmcnt(0)
	v_add_f64 v[12:13], v[8:9], v[40:41]
	v_mul_f64 v[22:23], v[2:3], v[151:152]
	v_fma_f64 v[102:103], v[14:15], v[28:29], v[20:21]
	v_add_f64 v[14:15], v[36:37], v[159:160]
	v_fma_f64 v[108:109], v[16:17], v[28:29], -v[4:5]
	v_add_f64 v[4:5], v[163:164], v[171:172]
	v_add_f64 v[16:17], v[38:39], v[161:162]
	v_fma_f64 v[112:113], v[2:3], v[149:150], -v[6:7]
	v_add_f64 v[2:3], v[12:13], v[163:164]
	v_add_f64 v[6:7], v[40:41], v[179:180]
	v_fma_f64 v[110:111], v[0:1], v[149:150], v[22:23]
	v_add_f64 v[12:13], v[14:15], v[167:168]
	v_add_f64 v[0:1], v[10:11], v[157:158]
	v_fma_f64 v[20:21], v[4:5], -0.5, v[8:9]
	v_add_f64 v[4:5], v[165:166], v[173:174]
	v_add_f64 v[14:15], v[16:17], v[169:170]
	v_add_f64 v[16:17], v[157:158], v[181:182]
	v_add_f64 v[2:3], v[2:3], v[171:172]
	v_fma_f64 v[18:19], v[6:7], -0.5, v[8:9]
	v_add_f64 v[6:7], v[169:170], v[177:178]
	v_add_f64 v[26:27], v[159:160], -v[183:184]
	v_add_f64 v[0:1], v[0:1], v[165:166]
	v_fma_f64 v[22:23], v[4:5], -0.5, v[10:11]
	v_add_f64 v[4:5], v[12:13], v[175:176]
	v_fma_f64 v[24:25], v[16:17], -0.5, v[10:11]
	v_add_f64 v[10:11], v[2:3], v[179:180]
	v_add_f64 v[2:3], v[167:168], v[175:176]
	v_fma_f64 v[16:17], v[6:7], -0.5, v[38:39]
	v_add_f64 v[8:9], v[14:15], v[177:178]
	v_add_f64 v[12:13], v[161:162], -v[169:170]
	v_add_f64 v[14:15], v[185:186], -v[177:178]
	;; [unrolled: 1-line block ×4, first 2 shown]
	v_add_f64 v[141:142], v[159:160], v[183:184]
	v_fma_f64 v[28:29], v[2:3], -0.5, v[36:37]
	v_fma_f64 v[2:3], v[26:27], s[4:5], v[16:17]
	v_add_f64 v[0:1], v[0:1], v[173:174]
	v_add_f64 v[44:45], v[159:160], -v[167:168]
	v_add_f64 v[46:47], v[183:184], -v[175:176]
	v_add_f64 v[125:126], v[12:13], v[14:15]
	v_add_f64 v[127:128], v[169:170], -v[177:178]
	v_add_f64 v[133:134], v[157:158], -v[181:182]
	v_fma_f64 v[12:13], v[30:31], s[14:15], v[28:29]
	v_fma_f64 v[14:15], v[32:33], s[6:7], v[2:3]
	v_add_f64 v[145:146], v[169:170], -v[161:162]
	v_add_f64 v[147:148], v[177:178], -v[185:186]
	v_fma_f64 v[36:37], v[141:142], -0.5, v[36:37]
	v_add_f64 v[6:7], v[0:1], v[181:182]
	v_add_f64 v[8:9], v[8:9], v[185:186]
	v_add_f64 v[34:35], v[40:41], -v[163:164]
	v_add_f64 v[129:130], v[179:180], -v[171:172]
	;; [unrolled: 1-line block ×4, first 2 shown]
	v_add_f64 v[44:45], v[44:45], v[46:47]
	v_fma_f64 v[12:13], v[127:128], s[8:9], v[12:13]
	v_fma_f64 v[14:15], v[125:126], s[16:17], v[14:15]
	;; [unrolled: 1-line block ×3, first 2 shown]
	v_add_f64 v[139:140], v[165:166], -v[173:174]
	v_add_f64 v[149:150], v[167:168], -v[159:160]
	v_add_f64 v[151:152], v[175:176], -v[183:184]
	v_add_f64 v[145:146], v[145:146], v[147:148]
	v_fma_f64 v[147:148], v[127:128], s[4:5], v[36:37]
	v_add_f64 v[46:47], v[161:162], v[185:186]
	v_add_f64 v[2:3], v[6:7], v[8:9]
	;; [unrolled: 1-line block ×3, first 2 shown]
	v_add_f64 v[129:130], v[40:41], -v[179:180]
	v_add_f64 v[131:132], v[131:132], v[135:136]
	v_fma_f64 v[12:13], v[44:45], s[16:17], v[12:13]
	v_mul_f64 v[135:136], v[14:15], s[8:9]
	v_fma_f64 v[137:138], v[139:140], s[8:9], v[137:138]
	v_add_f64 v[6:7], v[6:7], -v[8:9]
	v_add_f64 v[149:150], v[149:150], v[151:152]
	v_fma_f64 v[8:9], v[30:31], s[8:9], v[147:148]
	v_add_f64 v[40:41], v[163:164], -v[40:41]
	v_add_f64 v[147:148], v[171:172], -v[179:180]
	v_fma_f64 v[151:152], v[139:140], s[4:5], v[18:19]
	v_fma_f64 v[38:39], v[46:47], -0.5, v[38:39]
	v_add_f64 v[4:5], v[4:5], v[183:184]
	v_mul_f64 v[14:15], v[14:15], s[22:23]
	v_fma_f64 v[135:136], v[12:13], s[22:23], v[135:136]
	v_fma_f64 v[137:138], v[34:35], s[16:17], v[137:138]
	;; [unrolled: 1-line block ×3, first 2 shown]
	v_add_f64 v[40:41], v[40:41], v[147:148]
	v_fma_f64 v[147:148], v[133:134], s[8:9], v[151:152]
	v_fma_f64 v[141:142], v[32:33], s[14:15], v[38:39]
	;; [unrolled: 1-line block ×3, first 2 shown]
	v_add_f64 v[0:1], v[10:11], v[4:5]
	v_add_f64 v[4:5], v[10:11], -v[4:5]
	v_fma_f64 v[10:11], v[12:13], s[6:7], v[14:15]
	v_add_f64 v[12:13], v[137:138], v[135:136]
	v_add_f64 v[8:9], v[137:138], -v[135:136]
	v_fma_f64 v[137:138], v[40:41], s[16:17], v[147:148]
	v_fma_f64 v[147:148], v[26:27], s[14:15], v[16:17]
	;; [unrolled: 1-line block ×3, first 2 shown]
	v_add_f64 v[143:144], v[163:164], -v[171:172]
	v_fma_f64 v[141:142], v[26:27], s[6:7], v[141:142]
	v_fma_f64 v[36:37], v[127:128], s[14:15], v[36:37]
	;; [unrolled: 1-line block ×18, first 2 shown]
	v_add_f64 v[151:152], v[153:154], v[155:156]
	v_fma_f64 v[24:25], v[129:130], s[8:9], v[24:25]
	v_fma_f64 v[30:31], v[149:150], s[16:17], v[30:31]
	v_mul_f64 v[36:37], v[26:27], s[14:15]
	v_mul_f64 v[26:27], v[26:27], s[20:21]
	;; [unrolled: 1-line block ×3, first 2 shown]
	v_fma_f64 v[40:41], v[40:41], s[16:17], v[38:39]
	v_fma_f64 v[38:39], v[139:140], s[6:7], v[20:21]
	;; [unrolled: 1-line block ×3, first 2 shown]
	v_mul_f64 v[44:45], v[32:33], s[8:9]
	v_fma_f64 v[22:23], v[143:144], s[8:9], v[22:23]
	v_mul_f64 v[32:33], v[32:33], s[18:19]
	v_add_f64 v[14:15], v[46:47], v[10:11]
	v_add_f64 v[10:11], v[46:47], -v[10:11]
	v_fma_f64 v[46:47], v[151:152], s[16:17], v[24:25]
	v_fma_f64 v[26:27], v[30:31], s[4:5], v[26:27]
	v_mul_f64 v[141:142], v[141:142], s[16:17]
	v_fma_f64 v[153:154], v[129:130], s[6:7], v[157:158]
	v_fma_f64 v[135:136], v[159:160], s[16:17], v[161:162]
	;; [unrolled: 1-line block ×7, first 2 shown]
	v_add_f64 v[38:39], v[46:47], v[26:27]
	v_add_f64 v[26:27], v[46:47], -v[26:27]
	ds_read_b128 v[44:47], v124 offset:1600
	v_fma_f64 v[141:142], v[159:160], s[4:5], v[141:142]
	v_fma_f64 v[153:154], v[151:152], s[16:17], v[153:154]
	v_add_f64 v[16:17], v[137:138], v[135:136]
	v_add_f64 v[20:21], v[137:138], -v[135:136]
	v_add_f64 v[36:37], v[40:41], v[24:25]
	v_add_f64 v[24:25], v[40:41], -v[24:25]
	v_add_f64 v[32:33], v[30:31], v[125:126]
	v_add_f64 v[34:35], v[129:130], v[131:132]
	v_add_f64 v[28:29], v[30:31], -v[125:126]
	ds_read_b128 v[125:128], v124 offset:3200
	v_add_f64 v[40:41], v[52:53], v[62:63]
	s_waitcnt lgkmcnt(1)
	v_add_f64 v[133:134], v[44:45], v[42:43]
	v_add_f64 v[135:136], v[42:43], v[114:115]
	v_add_f64 v[30:31], v[129:130], -v[131:132]
	v_add_f64 v[131:132], v[46:47], v[48:49]
	v_add_f64 v[137:138], v[50:51], v[54:55]
	;; [unrolled: 1-line block ×3, first 2 shown]
	v_add_f64 v[22:23], v[153:154], -v[141:142]
	v_fma_f64 v[141:142], v[40:41], -0.5, v[44:45]
	v_add_f64 v[40:41], v[133:134], v[52:53]
	v_fma_f64 v[133:134], v[135:136], -0.5, v[44:45]
	v_add_f64 v[44:45], v[70:71], v[120:121]
	v_add_f64 v[131:132], v[131:132], v[56:57]
	v_add_f64 v[135:136], v[137:138], v[64:65]
	v_add_f64 v[139:140], v[60:61], v[66:67]
	v_add_f64 v[143:144], v[64:65], v[116:117]
	v_add_f64 v[147:148], v[54:55], -v[118:119]
	v_add_f64 v[40:41], v[40:41], v[62:63]
	v_add_f64 v[157:158], v[54:55], -v[64:65]
	v_fma_f64 v[145:146], v[44:45], -0.5, v[60:61]
	v_add_f64 v[44:45], v[131:132], v[58:59]
	v_add_f64 v[131:132], v[135:136], v[116:117]
	;; [unrolled: 1-line block ×3, first 2 shown]
	v_add_f64 v[159:160], v[118:119], -v[116:117]
	v_add_f64 v[149:150], v[122:123], -v[120:121]
	v_add_f64 v[40:41], v[40:41], v[114:115]
	v_fma_f64 v[143:144], v[143:144], -0.5, v[50:51]
	v_add_f64 v[151:152], v[66:67], -v[122:123]
	v_fma_f64 v[153:154], v[147:148], s[4:5], v[145:146]
	v_add_f64 v[131:132], v[131:132], v[118:119]
	v_add_f64 v[135:136], v[137:138], v[120:121]
	v_add_f64 v[137:138], v[66:67], -v[70:71]
	v_add_f64 v[155:156], v[64:65], -v[116:117]
	v_add_f64 v[163:164], v[44:45], v[68:69]
	v_add_f64 v[165:166], v[42:43], -v[52:53]
	v_add_f64 v[157:158], v[157:158], v[159:160]
	;; [unrolled: 2-line block ×3, first 2 shown]
	v_add_f64 v[167:168], v[48:49], -v[56:57]
	v_add_f64 v[169:170], v[68:69], -v[58:59]
	;; [unrolled: 1-line block ×3, first 2 shown]
	v_add_f64 v[131:132], v[66:67], v[122:123]
	v_add_f64 v[129:130], v[56:57], v[58:59]
	;; [unrolled: 1-line block ×3, first 2 shown]
	v_fma_f64 v[149:150], v[151:152], s[14:15], v[143:144]
	v_add_f64 v[161:162], v[70:71], -v[120:121]
	v_fma_f64 v[153:154], v[155:156], s[6:7], v[153:154]
	v_add_f64 v[159:160], v[165:166], v[159:160]
	v_add_f64 v[165:166], v[167:168], v[169:170]
	;; [unrolled: 1-line block ×3, first 2 shown]
	v_fma_f64 v[60:61], v[131:132], -0.5, v[60:61]
	v_fma_f64 v[129:130], v[129:130], -0.5, v[46:47]
	v_add_f64 v[131:132], v[42:43], -v[114:115]
	v_fma_f64 v[149:150], v[161:162], s[8:9], v[149:150]
	v_fma_f64 v[153:154], v[137:138], s[16:17], v[153:154]
	v_add_f64 v[66:67], v[70:71], -v[66:67]
	v_add_f64 v[70:71], v[120:121], -v[122:123]
	v_fma_f64 v[120:121], v[167:168], -0.5, v[50:51]
	v_fma_f64 v[50:51], v[155:156], s[14:15], v[60:61]
	v_add_f64 v[139:140], v[48:49], v[68:69]
	v_add_f64 v[135:136], v[135:136], v[122:123]
	v_fma_f64 v[149:150], v[157:158], s[16:17], v[149:150]
	v_mul_f64 v[171:172], v[153:154], s[8:9]
	v_add_f64 v[173:174], v[48:49], -v[68:69]
	v_add_f64 v[175:176], v[56:57], -v[58:59]
	v_fma_f64 v[122:123], v[131:132], s[4:5], v[129:130]
	v_add_f64 v[167:168], v[52:53], -v[62:63]
	v_add_f64 v[54:55], v[64:65], -v[54:55]
	;; [unrolled: 1-line block ×3, first 2 shown]
	v_add_f64 v[66:67], v[66:67], v[70:71]
	v_fma_f64 v[50:51], v[147:148], s[6:7], v[50:51]
	v_fma_f64 v[139:140], v[139:140], -0.5, v[46:47]
	v_mul_f64 v[153:154], v[153:154], s[22:23]
	v_fma_f64 v[169:170], v[149:150], s[22:23], v[171:172]
	v_fma_f64 v[171:172], v[173:174], s[14:15], v[141:142]
	v_fma_f64 v[70:71], v[161:162], s[4:5], v[120:121]
	v_fma_f64 v[118:119], v[167:168], s[6:7], v[122:123]
	v_add_f64 v[42:43], v[52:53], -v[42:43]
	v_add_f64 v[52:53], v[62:63], -v[114:115]
	v_add_f64 v[48:49], v[56:57], -v[48:49]
	v_add_f64 v[62:63], v[54:55], v[64:65]
	v_fma_f64 v[50:51], v[66:67], s[16:17], v[50:51]
	v_add_f64 v[56:57], v[58:59], -v[68:69]
	v_fma_f64 v[64:65], v[175:176], s[4:5], v[133:134]
	v_add_f64 v[46:47], v[163:164], v[135:136]
	v_fma_f64 v[149:150], v[149:150], s[6:7], v[153:154]
	v_fma_f64 v[116:117], v[175:176], s[8:9], v[171:172]
	;; [unrolled: 1-line block ×5, first 2 shown]
	v_add_f64 v[114:115], v[42:43], v[52:53]
	v_mul_f64 v[118:119], v[50:51], s[14:15]
	v_add_f64 v[122:123], v[48:49], v[56:57]
	v_mul_f64 v[48:49], v[50:51], s[16:17]
	v_fma_f64 v[50:51], v[173:174], s[8:9], v[64:65]
	v_add_f64 v[42:43], v[163:164], -v[135:136]
	v_fma_f64 v[60:61], v[155:156], s[4:5], v[60:61]
	v_fma_f64 v[135:136], v[147:148], s[14:15], v[145:146]
	;; [unrolled: 1-line block ×5, first 2 shown]
	v_add_f64 v[54:55], v[70:71], v[149:150]
	v_fma_f64 v[68:69], v[114:115], s[16:17], v[50:51]
	v_add_f64 v[50:51], v[70:71], -v[149:150]
	v_fma_f64 v[70:71], v[161:162], s[14:15], v[120:121]
	v_fma_f64 v[60:61], v[147:148], s[8:9], v[60:61]
	;; [unrolled: 1-line block ×17, first 2 shown]
	v_mul_f64 v[70:71], v[60:61], s[14:15]
	v_mul_f64 v[60:61], v[60:61], s[20:21]
	v_fma_f64 v[120:121], v[175:176], s[6:7], v[120:121]
	v_fma_f64 v[133:134], v[157:158], s[16:17], v[133:134]
	v_mul_f64 v[137:138], v[135:136], s[8:9]
	v_mul_f64 v[135:136], v[135:136], s[18:19]
	v_fma_f64 v[116:117], v[116:117], s[4:5], v[48:49]
	v_fma_f64 v[118:119], v[122:123], s[16:17], v[56:57]
	;; [unrolled: 1-line block ×10, first 2 shown]
	v_add_f64 v[52:53], v[58:59], v[169:170]
	v_add_f64 v[48:49], v[58:59], -v[169:170]
	v_add_f64 v[56:57], v[68:69], v[64:65]
	v_add_f64 v[58:59], v[118:119], v[116:117]
	v_add_f64 v[68:69], v[68:69], -v[64:65]
	v_add_f64 v[70:71], v[118:119], -v[116:117]
	v_add_f64 v[114:115], v[66:67], v[131:132]
	v_add_f64 v[116:117], v[122:123], v[60:61]
	v_add_f64 v[64:65], v[66:67], -v[131:132]
	;; [unrolled: 4-line block ×3, first 2 shown]
	v_add_f64 v[122:123], v[84:85], v[92:93]
	s_waitcnt lgkmcnt(0)
	v_add_f64 v[131:132], v[125:126], v[80:81]
	v_add_f64 v[135:136], v[80:81], v[102:103]
	v_add_f64 v[62:63], v[129:130], -v[133:134]
	v_add_f64 v[129:130], v[82:83], v[88:89]
	v_add_f64 v[133:134], v[127:128], v[78:79]
	;; [unrolled: 1-line block ×4, first 2 shown]
	v_fma_f64 v[122:123], v[122:123], -0.5, v[125:126]
	v_add_f64 v[131:132], v[131:132], v[84:85]
	v_fma_f64 v[135:136], v[135:136], -0.5, v[125:126]
	v_add_f64 v[125:126], v[100:101], v[106:107]
	;; [unrolled: 2-line block ×3, first 2 shown]
	v_add_f64 v[133:134], v[137:138], v[94:95]
	v_add_f64 v[157:158], v[90:91], -v[94:95]
	v_add_f64 v[159:160], v[110:111], -v[104:105]
	v_add_f64 v[131:132], v[131:132], v[92:93]
	v_add_f64 v[137:138], v[139:140], v[100:101]
	v_fma_f64 v[145:146], v[125:126], -0.5, v[96:97]
	v_add_f64 v[143:144], v[94:95], v[104:105]
	v_add_f64 v[125:126], v[129:130], v[88:89]
	;; [unrolled: 1-line block ×3, first 2 shown]
	v_add_f64 v[147:148], v[90:91], -v[110:111]
	v_add_f64 v[165:166], v[80:81], -v[84:85]
	v_add_f64 v[131:132], v[131:132], v[102:103]
	v_add_f64 v[157:158], v[157:158], v[159:160]
	v_add_f64 v[159:160], v[102:103], -v[92:93]
	v_add_f64 v[167:168], v[78:79], -v[82:83]
	v_add_f64 v[163:164], v[125:126], v[108:109]
	v_add_f64 v[129:130], v[129:130], v[110:111]
	v_add_f64 v[169:170], v[108:109], -v[88:89]
	v_add_f64 v[133:134], v[137:138], v[106:107]
	v_add_f64 v[137:138], v[98:99], -v[100:101]
	v_add_f64 v[149:150], v[112:113], -v[106:107]
	v_fma_f64 v[143:144], v[143:144], -0.5, v[86:87]
	v_add_f64 v[151:152], v[98:99], -v[112:113]
	v_fma_f64 v[153:154], v[147:148], s[4:5], v[145:146]
	v_add_f64 v[125:126], v[131:132], v[129:130]
	v_add_f64 v[129:130], v[131:132], -v[129:130]
	v_add_f64 v[131:132], v[98:99], v[112:113]
	v_add_f64 v[155:156], v[94:95], -v[104:105]
	v_add_f64 v[159:160], v[165:166], v[159:160]
	v_add_f64 v[165:166], v[167:168], v[169:170]
	v_add_f64 v[167:168], v[90:91], v[110:111]
	v_add_f64 v[137:138], v[137:138], v[149:150]
	v_fma_f64 v[149:150], v[151:152], s[14:15], v[143:144]
	v_add_f64 v[161:162], v[100:101], -v[106:107]
	v_fma_f64 v[96:97], v[131:132], -0.5, v[96:97]
	v_fma_f64 v[153:154], v[155:156], s[6:7], v[153:154]
	v_add_f64 v[173:174], v[78:79], -v[108:109]
	v_add_f64 v[98:99], v[100:101], -v[98:99]
	;; [unrolled: 1-line block ×3, first 2 shown]
	v_fma_f64 v[86:87], v[167:168], -0.5, v[86:87]
	v_add_f64 v[139:140], v[78:79], v[108:109]
	v_fma_f64 v[149:150], v[161:162], s[8:9], v[149:150]
	v_fma_f64 v[106:107], v[155:156], s[14:15], v[96:97]
	;; [unrolled: 1-line block ×3, first 2 shown]
	v_add_f64 v[169:170], v[80:81], -v[102:103]
	v_fma_f64 v[131:132], v[173:174], s[14:15], v[122:123]
	v_add_f64 v[175:176], v[82:83], -v[88:89]
	v_add_f64 v[90:91], v[94:95], -v[90:91]
	;; [unrolled: 1-line block ×3, first 2 shown]
	v_add_f64 v[98:99], v[98:99], v[100:101]
	v_fma_f64 v[100:101], v[161:162], s[4:5], v[86:87]
	v_fma_f64 v[104:105], v[147:148], s[6:7], v[106:107]
	v_fma_f64 v[139:140], v[139:140], -0.5, v[127:128]
	v_add_f64 v[133:134], v[133:134], v[112:113]
	v_fma_f64 v[149:150], v[157:158], s[16:17], v[149:150]
	v_mul_f64 v[171:172], v[153:154], s[8:9]
	v_fma_f64 v[112:113], v[169:170], s[4:5], v[141:142]
	v_add_f64 v[167:168], v[84:85], -v[92:93]
	v_fma_f64 v[106:107], v[175:176], s[8:9], v[131:132]
	v_add_f64 v[80:81], v[84:85], -v[80:81]
	v_add_f64 v[84:85], v[92:93], -v[102:103]
	;; [unrolled: 1-line block ×3, first 2 shown]
	v_add_f64 v[90:91], v[90:91], v[94:95]
	v_fma_f64 v[82:83], v[151:152], s[8:9], v[100:101]
	v_fma_f64 v[92:93], v[98:99], s[16:17], v[104:105]
	v_add_f64 v[88:89], v[88:89], -v[108:109]
	v_mul_f64 v[153:154], v[153:154], s[22:23]
	v_fma_f64 v[171:172], v[149:150], s[22:23], v[171:172]
	v_fma_f64 v[110:111], v[167:168], s[6:7], v[112:113]
	;; [unrolled: 1-line block ×5, first 2 shown]
	v_add_f64 v[106:107], v[80:81], v[84:85]
	v_fma_f64 v[82:83], v[90:91], s[16:17], v[82:83]
	v_mul_f64 v[84:85], v[92:93], s[14:15]
	v_add_f64 v[108:109], v[78:79], v[88:89]
	v_mul_f64 v[88:89], v[92:93], s[16:17]
	v_fma_f64 v[149:150], v[149:150], s[6:7], v[153:154]
	v_fma_f64 v[104:105], v[165:166], s[16:17], v[110:111]
	;; [unrolled: 1-line block ×4, first 2 shown]
	v_add_f64 v[78:79], v[94:95], v[171:172]
	v_fma_f64 v[102:103], v[82:83], s[16:17], v[84:85]
	v_fma_f64 v[96:97], v[155:156], s[4:5], v[96:97]
	v_fma_f64 v[110:111], v[82:83], s[4:5], v[88:89]
	v_add_f64 v[82:83], v[94:95], -v[171:172]
	v_fma_f64 v[94:95], v[147:148], s[14:15], v[145:146]
	v_add_f64 v[127:128], v[163:164], v[133:134]
	v_add_f64 v[131:132], v[163:164], -v[133:134]
	v_add_f64 v[80:81], v[104:105], v[149:150]
	v_add_f64 v[84:85], v[104:105], -v[149:150]
	v_fma_f64 v[104:105], v[161:162], s[14:15], v[86:87]
	v_fma_f64 v[96:97], v[147:148], s[8:9], v[96:97]
	;; [unrolled: 1-line block ×17, first 2 shown]
	v_mul_f64 v[104:105], v[96:97], s[14:15]
	v_mul_f64 v[96:97], v[96:97], s[20:21]
	v_fma_f64 v[112:113], v[175:176], s[6:7], v[112:113]
	v_fma_f64 v[122:123], v[167:168], s[8:9], v[122:123]
	;; [unrolled: 1-line block ×3, first 2 shown]
	v_mul_f64 v[137:138], v[94:95], s[8:9]
	v_mul_f64 v[94:95], v[94:95], s[18:19]
	v_fma_f64 v[98:99], v[106:107], s[16:17], v[98:99]
	v_fma_f64 v[106:107], v[108:109], s[16:17], v[135:136]
	;; [unrolled: 1-line block ×8, first 2 shown]
	v_add_f64 v[86:87], v[92:93], v[102:103]
	v_add_f64 v[88:89], v[100:101], v[110:111]
	v_add_f64 v[90:91], v[92:93], -v[102:103]
	v_add_f64 v[92:93], v[100:101], -v[110:111]
	v_add_f64 v[94:95], v[98:99], v[104:105]
	v_add_f64 v[96:97], v[106:107], v[108:109]
	v_add_f64 v[98:99], v[98:99], -v[104:105]
	v_add_f64 v[100:101], v[106:107], -v[108:109]
	;; [unrolled: 4-line block ×3, first 2 shown]
	s_barrier
	ds_write_b128 v124, v[0:3]
	ds_write_b128 v124, v[12:15] offset:4800
	ds_write_b128 v124, v[16:19] offset:9600
	;; [unrolled: 1-line block ×29, first 2 shown]
	s_waitcnt lgkmcnt(0)
	s_barrier
	s_and_saveexec_b64 s[4:5], s[0:1]
	s_cbranch_execz .LBB0_21
; %bb.20:
	v_mul_lo_u32 v0, s3, v76
	v_mul_lo_u32 v1, s2, v77
	v_mad_u64_u32 v[4:5], s[0:1], s2, v76, 0
	v_mov_b32_e32 v6, s11
	v_lshl_add_u32 v14, v72, 4, 0
	v_add3_u32 v5, v5, v1, v0
	v_lshlrev_b64 v[4:5], 4, v[4:5]
	v_mov_b32_e32 v73, 0
	v_add_co_u32_e32 v7, vcc, s10, v4
	v_addc_co_u32_e32 v6, vcc, v6, v5, vcc
	v_lshlrev_b64 v[4:5], 4, v[74:75]
	ds_read_b128 v[0:3], v14
	v_add_co_u32_e32 v15, vcc, v7, v4
	v_addc_co_u32_e32 v16, vcc, v6, v5, vcc
	v_lshlrev_b64 v[4:5], 4, v[72:73]
	v_add_co_u32_e32 v8, vcc, v15, v4
	v_addc_co_u32_e32 v9, vcc, v16, v5, vcc
	ds_read_b128 v[4:7], v14 offset:46400
	s_waitcnt lgkmcnt(1)
	global_store_dwordx4 v[8:9], v[0:3], off
	v_add_u32_e32 v8, 0x64, v72
	v_mov_b32_e32 v9, v73
	ds_read_b128 v[0:3], v14 offset:1600
	v_lshlrev_b64 v[8:9], 4, v[8:9]
	v_add_co_u32_e32 v12, vcc, v15, v8
	v_addc_co_u32_e32 v13, vcc, v16, v9, vcc
	ds_read_b128 v[8:11], v14 offset:3200
	s_waitcnt lgkmcnt(1)
	global_store_dwordx4 v[12:13], v[0:3], off
	s_nop 0
	v_add_u32_e32 v0, 0xc8, v72
	v_mov_b32_e32 v1, v73
	v_lshlrev_b64 v[0:1], 4, v[0:1]
	v_add_co_u32_e32 v0, vcc, v15, v0
	v_addc_co_u32_e32 v1, vcc, v16, v1, vcc
	s_waitcnt lgkmcnt(0)
	global_store_dwordx4 v[0:1], v[8:11], off
	ds_read_b128 v[0:3], v14 offset:4800
	v_add_u32_e32 v8, 0x12c, v72
	v_mov_b32_e32 v9, v73
	v_lshlrev_b64 v[8:9], 4, v[8:9]
	v_add_co_u32_e32 v12, vcc, v15, v8
	v_addc_co_u32_e32 v13, vcc, v16, v9, vcc
	ds_read_b128 v[8:11], v14 offset:6400
	s_waitcnt lgkmcnt(1)
	global_store_dwordx4 v[12:13], v[0:3], off
	s_nop 0
	v_add_u32_e32 v0, 0x190, v72
	v_mov_b32_e32 v1, v73
	v_lshlrev_b64 v[0:1], 4, v[0:1]
	v_add_co_u32_e32 v0, vcc, v15, v0
	v_addc_co_u32_e32 v1, vcc, v16, v1, vcc
	s_waitcnt lgkmcnt(0)
	global_store_dwordx4 v[0:1], v[8:11], off
	ds_read_b128 v[0:3], v14 offset:8000
	v_add_u32_e32 v8, 0x1f4, v72
	v_mov_b32_e32 v9, v73
	;; [unrolled: 17-line block ×13, first 2 shown]
	v_lshlrev_b64 v[8:9], 4, v[8:9]
	v_add_co_u32_e32 v12, vcc, v15, v8
	v_addc_co_u32_e32 v13, vcc, v16, v9, vcc
	ds_read_b128 v[8:11], v14 offset:44800
	s_waitcnt lgkmcnt(1)
	global_store_dwordx4 v[12:13], v[0:3], off
	s_nop 0
	v_add_u32_e32 v0, 0xaf0, v72
	v_mov_b32_e32 v1, v73
	v_lshlrev_b64 v[0:1], 4, v[0:1]
	v_add_u32_e32 v72, 0xb54, v72
	v_add_co_u32_e32 v0, vcc, v15, v0
	v_addc_co_u32_e32 v1, vcc, v16, v1, vcc
	s_waitcnt lgkmcnt(0)
	global_store_dwordx4 v[0:1], v[8:11], off
	v_lshlrev_b64 v[0:1], 4, v[72:73]
	v_add_co_u32_e32 v0, vcc, v15, v0
	v_addc_co_u32_e32 v1, vcc, v16, v1, vcc
	global_store_dwordx4 v[0:1], v[4:7], off
.LBB0_21:
	s_endpgm
	.section	.rodata,"a",@progbits
	.p2align	6, 0x0
	.amdhsa_kernel fft_rtc_back_len3000_factors_10_3_10_10_wgs_100_tpt_100_halfLds_dp_op_CI_CI_unitstride_sbrr_C2R_dirReg
		.amdhsa_group_segment_fixed_size 0
		.amdhsa_private_segment_fixed_size 0
		.amdhsa_kernarg_size 104
		.amdhsa_user_sgpr_count 6
		.amdhsa_user_sgpr_private_segment_buffer 1
		.amdhsa_user_sgpr_dispatch_ptr 0
		.amdhsa_user_sgpr_queue_ptr 0
		.amdhsa_user_sgpr_kernarg_segment_ptr 1
		.amdhsa_user_sgpr_dispatch_id 0
		.amdhsa_user_sgpr_flat_scratch_init 0
		.amdhsa_user_sgpr_private_segment_size 0
		.amdhsa_uses_dynamic_stack 0
		.amdhsa_system_sgpr_private_segment_wavefront_offset 0
		.amdhsa_system_sgpr_workgroup_id_x 1
		.amdhsa_system_sgpr_workgroup_id_y 0
		.amdhsa_system_sgpr_workgroup_id_z 0
		.amdhsa_system_sgpr_workgroup_info 0
		.amdhsa_system_vgpr_workitem_id 0
		.amdhsa_next_free_vgpr 255
		.amdhsa_next_free_sgpr 30
		.amdhsa_reserve_vcc 1
		.amdhsa_reserve_flat_scratch 0
		.amdhsa_float_round_mode_32 0
		.amdhsa_float_round_mode_16_64 0
		.amdhsa_float_denorm_mode_32 3
		.amdhsa_float_denorm_mode_16_64 3
		.amdhsa_dx10_clamp 1
		.amdhsa_ieee_mode 1
		.amdhsa_fp16_overflow 0
		.amdhsa_exception_fp_ieee_invalid_op 0
		.amdhsa_exception_fp_denorm_src 0
		.amdhsa_exception_fp_ieee_div_zero 0
		.amdhsa_exception_fp_ieee_overflow 0
		.amdhsa_exception_fp_ieee_underflow 0
		.amdhsa_exception_fp_ieee_inexact 0
		.amdhsa_exception_int_div_zero 0
	.end_amdhsa_kernel
	.text
.Lfunc_end0:
	.size	fft_rtc_back_len3000_factors_10_3_10_10_wgs_100_tpt_100_halfLds_dp_op_CI_CI_unitstride_sbrr_C2R_dirReg, .Lfunc_end0-fft_rtc_back_len3000_factors_10_3_10_10_wgs_100_tpt_100_halfLds_dp_op_CI_CI_unitstride_sbrr_C2R_dirReg
                                        ; -- End function
	.section	.AMDGPU.csdata,"",@progbits
; Kernel info:
; codeLenInByte = 24184
; NumSgprs: 34
; NumVgprs: 255
; ScratchSize: 0
; MemoryBound: 0
; FloatMode: 240
; IeeeMode: 1
; LDSByteSize: 0 bytes/workgroup (compile time only)
; SGPRBlocks: 4
; VGPRBlocks: 63
; NumSGPRsForWavesPerEU: 34
; NumVGPRsForWavesPerEU: 255
; Occupancy: 1
; WaveLimiterHint : 1
; COMPUTE_PGM_RSRC2:SCRATCH_EN: 0
; COMPUTE_PGM_RSRC2:USER_SGPR: 6
; COMPUTE_PGM_RSRC2:TRAP_HANDLER: 0
; COMPUTE_PGM_RSRC2:TGID_X_EN: 1
; COMPUTE_PGM_RSRC2:TGID_Y_EN: 0
; COMPUTE_PGM_RSRC2:TGID_Z_EN: 0
; COMPUTE_PGM_RSRC2:TIDIG_COMP_CNT: 0
	.type	__hip_cuid_c3b6c898690f62d7,@object ; @__hip_cuid_c3b6c898690f62d7
	.section	.bss,"aw",@nobits
	.globl	__hip_cuid_c3b6c898690f62d7
__hip_cuid_c3b6c898690f62d7:
	.byte	0                               ; 0x0
	.size	__hip_cuid_c3b6c898690f62d7, 1

	.ident	"AMD clang version 19.0.0git (https://github.com/RadeonOpenCompute/llvm-project roc-6.4.0 25133 c7fe45cf4b819c5991fe208aaa96edf142730f1d)"
	.section	".note.GNU-stack","",@progbits
	.addrsig
	.addrsig_sym __hip_cuid_c3b6c898690f62d7
	.amdgpu_metadata
---
amdhsa.kernels:
  - .args:
      - .actual_access:  read_only
        .address_space:  global
        .offset:         0
        .size:           8
        .value_kind:     global_buffer
      - .offset:         8
        .size:           8
        .value_kind:     by_value
      - .actual_access:  read_only
        .address_space:  global
        .offset:         16
        .size:           8
        .value_kind:     global_buffer
      - .actual_access:  read_only
        .address_space:  global
        .offset:         24
        .size:           8
        .value_kind:     global_buffer
      - .actual_access:  read_only
        .address_space:  global
        .offset:         32
        .size:           8
        .value_kind:     global_buffer
      - .offset:         40
        .size:           8
        .value_kind:     by_value
      - .actual_access:  read_only
        .address_space:  global
        .offset:         48
        .size:           8
        .value_kind:     global_buffer
      - .actual_access:  read_only
        .address_space:  global
        .offset:         56
        .size:           8
        .value_kind:     global_buffer
      - .offset:         64
        .size:           4
        .value_kind:     by_value
      - .actual_access:  read_only
        .address_space:  global
        .offset:         72
        .size:           8
        .value_kind:     global_buffer
      - .actual_access:  read_only
        .address_space:  global
        .offset:         80
        .size:           8
        .value_kind:     global_buffer
      - .actual_access:  read_only
        .address_space:  global
        .offset:         88
        .size:           8
        .value_kind:     global_buffer
      - .actual_access:  write_only
        .address_space:  global
        .offset:         96
        .size:           8
        .value_kind:     global_buffer
    .group_segment_fixed_size: 0
    .kernarg_segment_align: 8
    .kernarg_segment_size: 104
    .language:       OpenCL C
    .language_version:
      - 2
      - 0
    .max_flat_workgroup_size: 100
    .name:           fft_rtc_back_len3000_factors_10_3_10_10_wgs_100_tpt_100_halfLds_dp_op_CI_CI_unitstride_sbrr_C2R_dirReg
    .private_segment_fixed_size: 0
    .sgpr_count:     34
    .sgpr_spill_count: 0
    .symbol:         fft_rtc_back_len3000_factors_10_3_10_10_wgs_100_tpt_100_halfLds_dp_op_CI_CI_unitstride_sbrr_C2R_dirReg.kd
    .uniform_work_group_size: 1
    .uses_dynamic_stack: false
    .vgpr_count:     255
    .vgpr_spill_count: 0
    .wavefront_size: 64
amdhsa.target:   amdgcn-amd-amdhsa--gfx906
amdhsa.version:
  - 1
  - 2
...

	.end_amdgpu_metadata
